;; amdgpu-corpus repo=ROCm/rocFFT kind=compiled arch=gfx950 opt=O3
	.text
	.amdgcn_target "amdgcn-amd-amdhsa--gfx950"
	.amdhsa_code_object_version 6
	.protected	fft_rtc_back_len3840_factors_10_6_2_2_2_2_2_2_wgs_128_tpt_128_halfLds_dp_ip_CI_unitstride_sbrr_C2R_dirReg ; -- Begin function fft_rtc_back_len3840_factors_10_6_2_2_2_2_2_2_wgs_128_tpt_128_halfLds_dp_ip_CI_unitstride_sbrr_C2R_dirReg
	.globl	fft_rtc_back_len3840_factors_10_6_2_2_2_2_2_2_wgs_128_tpt_128_halfLds_dp_ip_CI_unitstride_sbrr_C2R_dirReg
	.p2align	8
	.type	fft_rtc_back_len3840_factors_10_6_2_2_2_2_2_2_wgs_128_tpt_128_halfLds_dp_ip_CI_unitstride_sbrr_C2R_dirReg,@function
fft_rtc_back_len3840_factors_10_6_2_2_2_2_2_2_wgs_128_tpt_128_halfLds_dp_ip_CI_unitstride_sbrr_C2R_dirReg: ; @fft_rtc_back_len3840_factors_10_6_2_2_2_2_2_2_wgs_128_tpt_128_halfLds_dp_ip_CI_unitstride_sbrr_C2R_dirReg
; %bb.0:
	s_load_dwordx2 s[8:9], s[0:1], 0x50
	s_load_dwordx4 s[4:7], s[0:1], 0x0
	s_load_dwordx2 s[10:11], s[0:1], 0x18
	v_mov_b32_e32 v6, s2
	v_mov_b32_e32 v4, 0
	v_mov_b32_e32 v132, v0
	s_waitcnt lgkmcnt(0)
	v_cmp_lt_u64_e64 s[2:3], s[6:7], 2
	v_mov_b32_e32 v7, v4
	s_and_b64 vcc, exec, s[2:3]
	v_mov_b64_e32 v[2:3], 0
	s_cbranch_vccnz .LBB0_8
; %bb.1:
	s_load_dwordx2 s[2:3], s[0:1], 0x10
	s_add_u32 s12, s10, 8
	s_addc_u32 s13, s11, 0
	s_mov_b64 s[14:15], 1
	v_mov_b64_e32 v[2:3], 0
	s_waitcnt lgkmcnt(0)
	s_add_u32 s16, s2, 8
	s_addc_u32 s17, s3, 0
.LBB0_2:                                ; =>This Inner Loop Header: Depth=1
	s_load_dwordx2 s[18:19], s[16:17], 0x0
                                        ; implicit-def: $vgpr8_vgpr9
	s_waitcnt lgkmcnt(0)
	v_or_b32_e32 v5, s19, v7
	v_cmp_ne_u64_e32 vcc, 0, v[4:5]
	s_and_saveexec_b64 s[2:3], vcc
	s_xor_b64 s[20:21], exec, s[2:3]
	s_cbranch_execz .LBB0_4
; %bb.3:                                ;   in Loop: Header=BB0_2 Depth=1
	v_cvt_f32_u32_e32 v0, s18
	v_cvt_f32_u32_e32 v1, s19
	s_sub_u32 s2, 0, s18
	s_subb_u32 s3, 0, s19
	v_fmac_f32_e32 v0, 0x4f800000, v1
	v_rcp_f32_e32 v0, v0
	s_nop 0
	v_mul_f32_e32 v0, 0x5f7ffffc, v0
	v_mul_f32_e32 v1, 0x2f800000, v0
	v_trunc_f32_e32 v1, v1
	v_fmac_f32_e32 v0, 0xcf800000, v1
	v_cvt_u32_f32_e32 v5, v1
	v_cvt_u32_f32_e32 v10, v0
	v_mul_lo_u32 v0, s2, v5
	v_mul_hi_u32 v8, s2, v10
	v_mul_lo_u32 v1, s3, v10
	v_add_u32_e32 v8, v8, v0
	v_mul_lo_u32 v11, s2, v10
	v_add_u32_e32 v12, v8, v1
	v_mul_hi_u32 v0, v10, v11
	v_mul_hi_u32 v9, v10, v12
	v_mul_lo_u32 v8, v10, v12
	v_mov_b32_e32 v1, v4
	v_lshl_add_u64 v[0:1], v[0:1], 0, v[8:9]
	v_mul_hi_u32 v9, v5, v11
	v_mul_lo_u32 v11, v5, v11
	v_add_co_u32_e32 v0, vcc, v0, v11
	v_mul_hi_u32 v8, v5, v12
	s_nop 0
	v_addc_co_u32_e32 v0, vcc, v1, v9, vcc
	v_mov_b32_e32 v1, v4
	s_nop 0
	v_addc_co_u32_e32 v9, vcc, 0, v8, vcc
	v_mul_lo_u32 v8, v5, v12
	v_lshl_add_u64 v[0:1], v[0:1], 0, v[8:9]
	v_add_co_u32_e32 v10, vcc, v10, v0
	v_mul_lo_u32 v8, s2, v10
	s_nop 0
	v_addc_co_u32_e32 v5, vcc, v5, v1, vcc
	v_mul_lo_u32 v0, s2, v5
	v_mul_hi_u32 v1, s2, v10
	v_add_u32_e32 v0, v1, v0
	v_mul_lo_u32 v1, s3, v10
	v_add_u32_e32 v11, v0, v1
	v_mul_hi_u32 v13, v5, v8
	v_mul_lo_u32 v14, v5, v8
	v_mul_hi_u32 v1, v10, v11
	v_mul_lo_u32 v0, v10, v11
	v_mul_hi_u32 v8, v10, v8
	v_mov_b32_e32 v9, v4
	v_lshl_add_u64 v[0:1], v[8:9], 0, v[0:1]
	v_add_co_u32_e32 v0, vcc, v0, v14
	v_mul_hi_u32 v12, v5, v11
	s_nop 0
	v_addc_co_u32_e32 v0, vcc, v1, v13, vcc
	v_mul_lo_u32 v8, v5, v11
	s_nop 0
	v_addc_co_u32_e32 v9, vcc, 0, v12, vcc
	v_mov_b32_e32 v1, v4
	v_lshl_add_u64 v[0:1], v[0:1], 0, v[8:9]
	v_add_co_u32_e32 v10, vcc, v10, v0
	v_mul_hi_u32 v8, v6, v10
	s_nop 0
	v_addc_co_u32_e32 v5, vcc, v5, v1, vcc
	v_mad_u64_u32 v[0:1], s[2:3], v6, v5, 0
	v_mov_b32_e32 v9, v4
	v_lshl_add_u64 v[0:1], v[8:9], 0, v[0:1]
	v_mad_u64_u32 v[10:11], s[2:3], v7, v10, 0
	v_add_co_u32_e32 v0, vcc, v0, v10
	v_mad_u64_u32 v[8:9], s[2:3], v7, v5, 0
	s_nop 0
	v_addc_co_u32_e32 v0, vcc, v1, v11, vcc
	v_mov_b32_e32 v1, v4
	s_nop 0
	v_addc_co_u32_e32 v9, vcc, 0, v9, vcc
	v_lshl_add_u64 v[0:1], v[0:1], 0, v[8:9]
	v_mul_lo_u32 v5, s19, v0
	v_mul_lo_u32 v10, s18, v1
	v_mad_u64_u32 v[8:9], s[2:3], s18, v0, 0
	v_add3_u32 v5, v9, v10, v5
	v_sub_u32_e32 v9, v7, v5
	v_mov_b32_e32 v10, s19
	v_sub_co_u32_e32 v12, vcc, v6, v8
	s_nop 1
	v_subb_co_u32_e64 v8, s[2:3], v9, v10, vcc
	v_subrev_co_u32_e64 v9, s[2:3], s18, v12
	v_subb_co_u32_e32 v5, vcc, v7, v5, vcc
	s_nop 0
	v_subbrev_co_u32_e64 v8, s[2:3], 0, v8, s[2:3]
	v_cmp_le_u32_e64 s[2:3], s19, v8
	v_cmp_le_u32_e32 vcc, s19, v5
	s_nop 0
	v_cndmask_b32_e64 v10, 0, -1, s[2:3]
	v_cmp_le_u32_e64 s[2:3], s18, v9
	s_nop 1
	v_cndmask_b32_e64 v9, 0, -1, s[2:3]
	v_cmp_eq_u32_e64 s[2:3], s19, v8
	s_nop 1
	v_cndmask_b32_e64 v13, v10, v9, s[2:3]
	v_lshl_add_u64 v[8:9], v[0:1], 0, 2
	v_lshl_add_u64 v[10:11], v[0:1], 0, 1
	v_cmp_ne_u32_e64 s[2:3], 0, v13
	s_nop 1
	v_cndmask_b32_e64 v9, v11, v9, s[2:3]
	v_cndmask_b32_e64 v11, 0, -1, vcc
	v_cmp_le_u32_e32 vcc, s18, v12
	s_nop 1
	v_cndmask_b32_e64 v12, 0, -1, vcc
	v_cmp_eq_u32_e32 vcc, s19, v5
	s_nop 1
	v_cndmask_b32_e32 v5, v11, v12, vcc
	v_cmp_ne_u32_e32 vcc, 0, v5
	s_nop 1
	v_cndmask_b32_e32 v9, v1, v9, vcc
	v_cndmask_b32_e64 v1, v10, v8, s[2:3]
	v_cndmask_b32_e32 v8, v0, v1, vcc
.LBB0_4:                                ;   in Loop: Header=BB0_2 Depth=1
	s_andn2_saveexec_b64 s[2:3], s[20:21]
	s_cbranch_execz .LBB0_6
; %bb.5:                                ;   in Loop: Header=BB0_2 Depth=1
	v_cvt_f32_u32_e32 v0, s18
	s_sub_i32 s20, 0, s18
	v_mov_b32_e32 v9, v4
	v_rcp_iflag_f32_e32 v0, v0
	s_nop 0
	v_mul_f32_e32 v0, 0x4f7ffffe, v0
	v_cvt_u32_f32_e32 v0, v0
	v_mul_lo_u32 v1, s20, v0
	v_mul_hi_u32 v1, v0, v1
	v_add_u32_e32 v0, v0, v1
	v_mul_hi_u32 v0, v6, v0
	v_mul_lo_u32 v1, v0, s18
	v_sub_u32_e32 v1, v6, v1
	v_add_u32_e32 v5, 1, v0
	v_subrev_u32_e32 v8, s18, v1
	v_cmp_le_u32_e32 vcc, s18, v1
	s_nop 1
	v_cndmask_b32_e32 v1, v1, v8, vcc
	v_cndmask_b32_e32 v0, v0, v5, vcc
	v_add_u32_e32 v5, 1, v0
	v_cmp_le_u32_e32 vcc, s18, v1
	s_nop 1
	v_cndmask_b32_e32 v8, v0, v5, vcc
.LBB0_6:                                ;   in Loop: Header=BB0_2 Depth=1
	s_or_b64 exec, exec, s[2:3]
	v_mad_u64_u32 v[0:1], s[2:3], v8, s18, 0
	s_load_dwordx2 s[2:3], s[12:13], 0x0
	v_mul_lo_u32 v5, v9, s18
	v_mul_lo_u32 v10, v8, s19
	v_add3_u32 v1, v1, v10, v5
	v_sub_co_u32_e32 v0, vcc, v6, v0
	s_add_u32 s14, s14, 1
	s_nop 0
	v_subb_co_u32_e32 v1, vcc, v7, v1, vcc
	s_addc_u32 s15, s15, 0
	s_waitcnt lgkmcnt(0)
	v_mul_lo_u32 v1, s2, v1
	v_mul_lo_u32 v5, s3, v0
	v_mad_u64_u32 v[2:3], s[2:3], s2, v0, v[2:3]
	s_add_u32 s12, s12, 8
	v_add3_u32 v3, v5, v3, v1
	s_addc_u32 s13, s13, 0
	v_mov_b64_e32 v[0:1], s[6:7]
	s_add_u32 s16, s16, 8
	v_cmp_ge_u64_e32 vcc, s[14:15], v[0:1]
	s_addc_u32 s17, s17, 0
	s_cbranch_vccnz .LBB0_9
; %bb.7:                                ;   in Loop: Header=BB0_2 Depth=1
	v_mov_b64_e32 v[6:7], v[8:9]
	s_branch .LBB0_2
.LBB0_8:
	v_mov_b64_e32 v[8:9], v[6:7]
.LBB0_9:
	s_lshl_b64 s[2:3], s[6:7], 3
	s_add_u32 s2, s10, s2
	s_addc_u32 s3, s11, s3
	s_load_dwordx2 s[6:7], s[2:3], 0x0
	s_load_dwordx2 s[10:11], s[0:1], 0x20
	v_mov_b32_e32 v11, 0
	v_mov_b32_e32 v164, v132
	s_waitcnt lgkmcnt(0)
	v_mul_lo_u32 v4, s6, v9
	v_mul_lo_u32 v5, s7, v8
	v_mad_u64_u32 v[0:1], s[0:1], s6, v8, v[2:3]
	v_add3_u32 v1, v5, v1, v4
	v_cmp_gt_u64_e64 s[0:1], s[10:11], v[8:9]
	v_lshl_add_u64 v[230:231], v[0:1], 4, s[8:9]
	v_mov_b64_e32 v[2:3], v[132:133]
	s_and_saveexec_b64 s[2:3], s[0:1]
	s_cbranch_execz .LBB0_13
; %bb.10:
	v_lshlrev_b32_e32 v10, 4, v132
	v_lshl_add_u64 v[0:1], v[230:231], 0, v[10:11]
	global_load_dwordx4 v[2:5], v[0:1], off
	global_load_dwordx4 v[6:9], v[0:1], off offset:2048
	v_or_b32_e32 v0, 0x1000, v10
	v_mov_b32_e32 v1, v11
	v_lshl_add_u64 v[0:1], v[230:231], 0, v[0:1]
	v_or_b32_e32 v12, 0x1800, v10
	v_mov_b32_e32 v13, v11
	v_lshl_add_u64 v[20:21], v[230:231], 0, v[12:13]
	global_load_dwordx4 v[12:15], v[0:1], off
	global_load_dwordx4 v[16:19], v[20:21], off
	v_or_b32_e32 v0, 0x2000, v10
	v_mov_b32_e32 v1, v11
	v_lshl_add_u64 v[0:1], v[230:231], 0, v[0:1]
	v_mov_b32_e32 v21, v11
	v_mov_b32_e32 v23, v11
	;; [unrolled: 1-line block ×11, first 2 shown]
	v_or_b32_e32 v20, 0x2800, v10
	v_or_b32_e32 v22, 0x3000, v10
	;; [unrolled: 1-line block ×11, first 2 shown]
	v_lshl_add_u64 v[68:69], v[230:231], 0, v[20:21]
	v_lshl_add_u64 v[70:71], v[230:231], 0, v[22:23]
	v_lshl_add_u64 v[72:73], v[230:231], 0, v[124:125]
	v_lshl_add_u64 v[74:75], v[230:231], 0, v[24:25]
	v_lshl_add_u64 v[76:77], v[230:231], 0, v[26:27]
	v_lshl_add_u64 v[78:79], v[230:231], 0, v[28:29]
	v_lshl_add_u64 v[80:81], v[230:231], 0, v[30:31]
	v_lshl_add_u64 v[82:83], v[230:231], 0, v[32:33]
	v_lshl_add_u64 v[84:85], v[230:231], 0, v[34:35]
	v_lshl_add_u64 v[86:87], v[230:231], 0, v[36:37]
	v_lshl_add_u64 v[88:89], v[230:231], 0, v[126:127]
	global_load_dwordx4 v[20:23], v[0:1], off
	global_load_dwordx4 v[24:27], v[68:69], off
	;; [unrolled: 1-line block ×12, first 2 shown]
	v_mov_b32_e32 v1, v11
	v_or_b32_e32 v0, 0x8000, v10
	v_lshl_add_u64 v[0:1], v[230:231], 0, v[0:1]
	v_or_b32_e32 v68, 0x8800, v10
	v_mov_b32_e32 v69, v11
	v_lshl_add_u64 v[76:77], v[230:231], 0, v[68:69]
	global_load_dwordx4 v[68:71], v[0:1], off
	global_load_dwordx4 v[72:75], v[76:77], off
	v_or_b32_e32 v0, 0x9000, v10
	v_mov_b32_e32 v1, v11
	v_lshl_add_u64 v[0:1], v[230:231], 0, v[0:1]
	v_or_b32_e32 v76, 0x9800, v10
	v_mov_b32_e32 v77, v11
	v_lshl_add_u64 v[84:85], v[230:231], 0, v[76:77]
	global_load_dwordx4 v[76:79], v[0:1], off
	global_load_dwordx4 v[80:83], v[84:85], off
	v_or_b32_e32 v0, 0xa000, v10
	v_mov_b32_e32 v1, v11
	;; [unrolled: 8-line block ×6, first 2 shown]
	v_add_u32_e32 v130, 0, v10
	v_lshl_add_u64 v[0:1], v[230:231], 0, v[0:1]
	v_or_b32_e32 v10, 0xe800, v10
	v_lshl_add_u64 v[10:11], v[230:231], 0, v[10:11]
	global_load_dwordx4 v[116:119], v[0:1], off
	global_load_dwordx4 v[120:123], v[10:11], off
	v_add_u32_e32 v0, 0, v124
	s_movk_i32 s6, 0x7f
	s_waitcnt vmcnt(29)
	ds_write_b128 v130, v[2:5]
	s_waitcnt vmcnt(28)
	ds_write_b128 v130, v[6:9] offset:2048
	s_waitcnt vmcnt(27)
	ds_write_b128 v130, v[12:15] offset:4096
	;; [unrolled: 2-line block ×4, first 2 shown]
	v_add_u32_e32 v1, 0, v126
	s_waitcnt vmcnt(24)
	ds_write_b128 v130, v[24:27] offset:10240
	s_waitcnt vmcnt(23)
	ds_write_b128 v130, v[28:31] offset:12288
	s_waitcnt vmcnt(22)
	ds_write_b128 v0, v[32:35]
	s_waitcnt vmcnt(21)
	ds_write_b128 v130, v[36:39] offset:16384
	s_waitcnt vmcnt(20)
	ds_write_b128 v130, v[40:43] offset:18432
	;; [unrolled: 2-line block ×7, first 2 shown]
	s_waitcnt vmcnt(14)
	ds_write_b128 v1, v[64:67]
	s_waitcnt vmcnt(13)
	ds_write_b128 v130, v[68:71] offset:32768
	s_waitcnt vmcnt(12)
	ds_write_b128 v130, v[72:75] offset:34816
	s_waitcnt vmcnt(11)
	ds_write_b128 v130, v[76:79] offset:36864
	s_waitcnt vmcnt(10)
	ds_write_b128 v130, v[80:83] offset:38912
	s_waitcnt vmcnt(9)
	ds_write_b128 v130, v[84:87] offset:40960
	s_waitcnt vmcnt(8)
	ds_write_b128 v130, v[88:91] offset:43008
	s_waitcnt vmcnt(7)
	ds_write_b128 v130, v[92:95] offset:45056
	v_add_u32_e32 v0, 0, v128
	v_cmp_eq_u32_e32 vcc, s6, v132
	v_mov_b32_e32 v164, v132
	v_mov_b64_e32 v[2:3], v[132:133]
	s_waitcnt vmcnt(6)
	ds_write_b128 v0, v[96:99]
	s_waitcnt vmcnt(5)
	ds_write_b128 v130, v[100:103] offset:49152
	s_waitcnt vmcnt(4)
	ds_write_b128 v130, v[104:107] offset:51200
	;; [unrolled: 2-line block ×6, first 2 shown]
	s_and_saveexec_b64 s[6:7], vcc
	s_cbranch_execz .LBB0_12
; %bb.11:
	v_add_co_u32_e32 v0, vcc, 0xf000, v230
	v_mov_b32_e32 v4, 0
	s_nop 0
	v_addc_co_u32_e32 v1, vcc, 0, v231, vcc
	global_load_dwordx4 v[0:3], v[0:1], off
	v_mov_b32_e32 v164, 0x7f
	s_waitcnt vmcnt(0)
	ds_write_b128 v4, v[0:3] offset:61440
	v_mov_b64_e32 v[2:3], 0x7f
.LBB0_12:
	s_or_b64 exec, exec, s[6:7]
.LBB0_13:
	s_or_b64 exec, exec, s[2:3]
	v_lshlrev_b32_e32 v166, 4, v164
	v_add_u32_e32 v165, 0, v166
	s_waitcnt lgkmcnt(0)
	s_barrier
	v_sub_u32_e32 v30, 0, v166
	ds_read_b64 v[4:5], v165
	ds_read_b64 v[6:7], v30 offset:61440
	s_add_u32 s2, s4, 0xef60
	s_addc_u32 s3, s5, 0
	v_cmp_ne_u32_e32 vcc, 0, v164
	v_lshlrev_b32_e32 v22, 4, v2
	s_waitcnt lgkmcnt(0)
	v_add_f64 v[18:19], v[4:5], v[6:7]
	v_add_f64 v[20:21], v[4:5], -v[6:7]
	s_and_saveexec_b64 s[6:7], vcc
	s_xor_b64 s[6:7], exec, s[6:7]
	s_cbranch_execz .LBB0_15
; %bb.14:
	global_load_dwordx4 v[0:3], v22, s[2:3]
	ds_read_b64 v[8:9], v30 offset:61448
	ds_read_b64 v[10:11], v165 offset:8
	v_add_f64 v[12:13], v[4:5], v[6:7]
	v_add_f64 v[14:15], v[4:5], -v[6:7]
	s_waitcnt lgkmcnt(0)
	v_add_f64 v[16:17], v[8:9], v[10:11]
	v_add_f64 v[6:7], v[10:11], -v[8:9]
	s_waitcnt vmcnt(0)
	v_fma_f64 v[20:21], v[16:17], v[2:3], v[6:7]
	v_fma_f64 v[4:5], -v[14:15], v[2:3], v[12:13]
	v_fma_f64 v[6:7], v[16:17], v[2:3], -v[6:7]
	v_fma_f64 v[8:9], v[14:15], v[2:3], v[12:13]
	v_fmac_f64_e32 v[4:5], v[16:17], v[0:1]
	v_fmac_f64_e32 v[6:7], v[14:15], v[0:1]
	v_fma_f64 v[18:19], -v[16:17], v[0:1], v[8:9]
	v_fmac_f64_e32 v[20:21], v[14:15], v[0:1]
	ds_write_b128 v30, v[4:7] offset:61440
.LBB0_15:
	s_or_saveexec_b64 s[6:7], s[6:7]
	v_accvgpr_write_b32 a4, v22
	s_xor_b64 exec, exec, s[6:7]
	s_cbranch_execz .LBB0_17
; %bb.16:
	v_mov_b32_e32 v4, 0
	ds_read_b128 v[0:3], v4 offset:30720
	s_waitcnt lgkmcnt(0)
	v_add_f64 v[0:1], v[0:1], v[0:1]
	v_mul_f64 v[2:3], v[2:3], -2.0
	ds_write_b128 v4, v[0:3] offset:30720
.LBB0_17:
	s_or_b64 exec, exec, s[6:7]
	global_load_dwordx4 v[2:5], v166, s[2:3] offset:2048
	v_or_b32_e32 v222, 0x100, v164
	v_lshlrev_b32_e32 v0, 4, v222
	global_load_dwordx4 v[6:9], v0, s[2:3]
	v_or_b32_e32 v192, 0x180, v164
	v_mov_b32_e32 v28, v0
	v_lshlrev_b32_e32 v0, 4, v192
	global_load_dwordx4 v[10:13], v0, s[2:3]
	v_or_b32_e32 v232, 0x200, v164
	v_mov_b32_e32 v44, v0
	v_lshlrev_b32_e32 v0, 4, v232
	global_load_dwordx4 v[14:17], v0, s[2:3]
	ds_write_b128 v165, v[18:21]
	ds_read_b128 v[18:21], v165 offset:2048
	ds_read_b128 v[22:25], v30 offset:59392
	v_or_b32_e32 v221, 0x280, v164
	v_or_b32_e32 v223, 0x700, v164
	v_mov_b32_e32 v182, v0
	v_lshlrev_b32_e32 v48, 4, v221
	v_lshlrev_b32_e32 v0, 4, v223
	v_add_u32_e32 v233, 0, v28
	v_mov_b32_e32 v168, v28
	global_load_dwordx4 v[32:35], v48, s[2:3]
	global_load_dwordx4 v[26:29], v0, s[2:3]
	v_mov_b32_e32 v42, v0
	s_waitcnt lgkmcnt(0)
	v_add_f64 v[0:1], v[18:19], v[22:23]
	v_add_f64 v[36:37], v[24:25], v[20:21]
	v_add_f64 v[38:39], v[18:19], -v[22:23]
	v_add_f64 v[18:19], v[20:21], -v[24:25]
	v_or_b32_e32 v242, 0x300, v164
	v_add_u32_e32 v31, 0, v44
	v_mov_b32_e32 v188, v44
	v_or_b32_e32 v158, 0x380, v132
	v_or_b32_e32 v193, 0x400, v164
	;; [unrolled: 1-line block ×3, first 2 shown]
	v_add_u32_e32 v236, 0, v48
	v_mov_b32_e32 v235, v31
	v_mov_b32_e32 v184, v48
	v_or_b32_e32 v240, 0x500, v164
	v_or_b32_e32 v239, 0x580, v164
	;; [unrolled: 1-line block ×4, first 2 shown]
	v_accvgpr_write_b32 a0, v42
	s_mov_b32 s8, 0x134454ff
	s_mov_b32 s9, 0xbfee6f0e
	;; [unrolled: 1-line block ×6, first 2 shown]
	v_accvgpr_write_b32 a2, v132
	s_mov_b32 s12, 0x372fe950
	s_mov_b32 s13, 0x3fd3c6ef
	;; [unrolled: 1-line block ×8, first 2 shown]
	v_or_b32_e32 v237, 0x80, v164
	v_mul_u32_u24_e32 v167, 0x199a, v232
	v_mov_b32_e32 v161, 10
	v_mul_u32_u24_e32 v160, 0x199a, v222
	v_mul_u32_u24_e32 v172, 0x445, v232
	s_waitcnt vmcnt(5)
	v_fma_f64 v[40:41], v[38:39], v[4:5], v[0:1]
	v_fma_f64 v[20:21], v[36:37], v[4:5], v[18:19]
	v_fma_f64 v[22:23], -v[38:39], v[4:5], v[0:1]
	v_fma_f64 v[24:25], v[36:37], v[4:5], -v[18:19]
	v_fma_f64 v[18:19], -v[36:37], v[2:3], v[40:41]
	v_fmac_f64_e32 v[20:21], v[38:39], v[2:3]
	v_fmac_f64_e32 v[22:23], v[36:37], v[2:3]
	;; [unrolled: 1-line block ×3, first 2 shown]
	ds_write_b128 v165, v[18:21] offset:2048
	ds_write_b128 v30, v[22:25] offset:59392
	ds_read_b128 v[2:5], v233
	ds_read_b128 v[18:21], v30 offset:57344
	v_lshlrev_b32_e32 v22, 4, v242
	v_mov_b32_e32 v44, v22
	v_mov_b32_e32 v224, v44
	s_waitcnt lgkmcnt(0)
	v_add_f64 v[0:1], v[2:3], v[18:19]
	v_add_f64 v[36:37], v[20:21], v[4:5]
	v_add_f64 v[38:39], v[2:3], -v[18:19]
	v_add_f64 v[2:3], v[4:5], -v[20:21]
	global_load_dwordx4 v[18:21], v22, s[2:3]
	s_waitcnt vmcnt(5)
	v_fma_f64 v[40:41], v[38:39], v[8:9], v[0:1]
	v_fma_f64 v[4:5], v[36:37], v[8:9], v[2:3]
	v_fma_f64 v[22:23], -v[38:39], v[8:9], v[0:1]
	v_fma_f64 v[24:25], v[36:37], v[8:9], -v[2:3]
	v_fma_f64 v[2:3], -v[36:37], v[6:7], v[40:41]
	v_fmac_f64_e32 v[4:5], v[38:39], v[6:7]
	v_fmac_f64_e32 v[22:23], v[36:37], v[6:7]
	;; [unrolled: 1-line block ×3, first 2 shown]
	ds_write_b128 v233, v[2:5]
	ds_write_b128 v30, v[22:25] offset:57344
	ds_read_b128 v[2:5], v31
	ds_read_b128 v[6:9], v30 offset:55296
	v_lshlrev_b32_e32 v0, 4, v158
	global_load_dwordx4 v[22:25], v0, s[2:3]
	v_mov_b32_e32 v46, v0
	v_mov_b32_e32 v180, v46
	s_waitcnt lgkmcnt(0)
	v_add_f64 v[0:1], v[2:3], v[6:7]
	v_add_f64 v[36:37], v[8:9], v[4:5]
	v_add_f64 v[38:39], v[2:3], -v[6:7]
	v_add_f64 v[2:3], v[4:5], -v[8:9]
	s_waitcnt vmcnt(5)
	v_fma_f64 v[40:41], v[38:39], v[12:13], v[0:1]
	v_fma_f64 v[4:5], v[36:37], v[12:13], v[2:3]
	v_fma_f64 v[6:7], -v[38:39], v[12:13], v[0:1]
	v_fma_f64 v[8:9], v[36:37], v[12:13], -v[2:3]
	v_fma_f64 v[2:3], -v[36:37], v[10:11], v[40:41]
	v_fmac_f64_e32 v[4:5], v[38:39], v[10:11]
	v_fmac_f64_e32 v[6:7], v[36:37], v[10:11]
	;; [unrolled: 1-line block ×3, first 2 shown]
	ds_write_b128 v31, v[2:5]
	ds_write_b128 v30, v[6:9] offset:55296
	ds_read_b128 v[2:5], v165 offset:8192
	ds_read_b128 v[6:9], v30 offset:53248
	v_lshlrev_b32_e32 v38, 4, v193
	v_mov_b32_e32 v48, v38
	v_add_u32_e32 v31, 0, v44
	v_mov_b32_e32 v219, v31
	s_waitcnt lgkmcnt(0)
	v_add_f64 v[0:1], v[2:3], v[6:7]
	v_add_f64 v[10:11], v[8:9], v[4:5]
	v_add_f64 v[12:13], v[2:3], -v[6:7]
	v_add_f64 v[2:3], v[4:5], -v[8:9]
	s_waitcnt vmcnt(4)
	v_fma_f64 v[36:37], v[12:13], v[16:17], v[0:1]
	v_fma_f64 v[4:5], v[10:11], v[16:17], v[2:3]
	v_fma_f64 v[6:7], -v[12:13], v[16:17], v[0:1]
	v_fma_f64 v[8:9], v[10:11], v[16:17], -v[2:3]
	v_fma_f64 v[2:3], -v[10:11], v[14:15], v[36:37]
	v_fmac_f64_e32 v[4:5], v[12:13], v[14:15]
	v_fmac_f64_e32 v[6:7], v[10:11], v[14:15]
	;; [unrolled: 1-line block ×3, first 2 shown]
	global_load_dwordx4 v[10:13], v38, s[2:3]
	ds_write_b128 v165, v[2:5] offset:8192
	ds_write_b128 v30, v[6:9] offset:53248
	v_lshlrev_b32_e32 v0, 4, v241
	ds_read_b128 v[2:5], v236
	ds_read_b128 v[6:9], v30 offset:51200
	global_load_dwordx4 v[14:17], v0, s[2:3]
	v_mov_b32_e32 v44, v0
	v_mov_b32_e32 v178, v48
	v_mov_b32_e32 v176, v44
	s_waitcnt lgkmcnt(0)
	v_add_f64 v[0:1], v[2:3], v[6:7]
	v_add_f64 v[36:37], v[8:9], v[4:5]
	v_add_f64 v[38:39], v[2:3], -v[6:7]
	v_add_f64 v[2:3], v[4:5], -v[8:9]
	s_waitcnt vmcnt(5)
	v_fma_f64 v[40:41], v[38:39], v[34:35], v[0:1]
	v_fma_f64 v[4:5], v[36:37], v[34:35], v[2:3]
	v_fma_f64 v[6:7], -v[38:39], v[34:35], v[0:1]
	v_fma_f64 v[8:9], v[36:37], v[34:35], -v[2:3]
	v_fma_f64 v[2:3], -v[36:37], v[32:33], v[40:41]
	v_fmac_f64_e32 v[4:5], v[38:39], v[32:33]
	v_fmac_f64_e32 v[6:7], v[36:37], v[32:33]
	v_fmac_f64_e32 v[8:9], v[38:39], v[32:33]
	ds_write_b128 v236, v[2:5]
	ds_write_b128 v30, v[6:9] offset:51200
	ds_read_b128 v[2:5], v31
	ds_read_b128 v[6:9], v30 offset:49152
	s_waitcnt lgkmcnt(0)
	v_add_f64 v[0:1], v[2:3], v[6:7]
	v_add_f64 v[32:33], v[8:9], v[4:5]
	v_add_f64 v[34:35], v[2:3], -v[6:7]
	v_add_f64 v[2:3], v[4:5], -v[8:9]
	s_waitcnt vmcnt(3)
	v_fma_f64 v[36:37], v[34:35], v[20:21], v[0:1]
	v_fma_f64 v[4:5], v[32:33], v[20:21], v[2:3]
	v_fma_f64 v[6:7], -v[34:35], v[20:21], v[0:1]
	v_fma_f64 v[8:9], v[32:33], v[20:21], -v[2:3]
	v_fma_f64 v[2:3], -v[32:33], v[18:19], v[36:37]
	v_fmac_f64_e32 v[4:5], v[34:35], v[18:19]
	v_fmac_f64_e32 v[6:7], v[32:33], v[18:19]
	;; [unrolled: 1-line block ×3, first 2 shown]
	ds_write_b128 v31, v[2:5]
	ds_write_b128 v30, v[6:9] offset:49152
	v_add_u32_e32 v0, 0, v46
	ds_read_b128 v[2:5], v0
	ds_read_b128 v[6:9], v30 offset:47104
	v_mov_b32_e32 v31, v0
	v_lshlrev_b32_e32 v0, 4, v240
	global_load_dwordx4 v[18:21], v0, s[2:3]
	v_mov_b32_e32 v46, v0
	s_waitcnt lgkmcnt(0)
	v_add_f64 v[0:1], v[2:3], v[6:7]
	v_add_f64 v[32:33], v[8:9], v[4:5]
	v_add_f64 v[6:7], v[2:3], -v[6:7]
	v_add_f64 v[8:9], v[4:5], -v[8:9]
	s_waitcnt vmcnt(3)
	v_fma_f64 v[2:3], v[6:7], v[24:25], v[0:1]
	v_fma_f64 v[4:5], v[32:33], v[24:25], v[8:9]
	v_fma_f64 v[2:3], -v[32:33], v[22:23], v[2:3]
	v_fmac_f64_e32 v[4:5], v[6:7], v[22:23]
	ds_write_b128 v31, v[2:5]
	v_fma_f64 v[2:3], -v[6:7], v[24:25], v[0:1]
	v_fma_f64 v[4:5], v[32:33], v[24:25], -v[8:9]
	v_fmac_f64_e32 v[2:3], v[32:33], v[22:23]
	v_fmac_f64_e32 v[4:5], v[6:7], v[22:23]
	v_lshlrev_b32_e32 v0, 4, v239
	ds_write_b128 v30, v[2:5] offset:47104
	global_load_dwordx4 v[2:5], v0, s[2:3]
	v_mov_b32_e32 v191, v31
	v_add_u32_e32 v31, 0, v48
	ds_read_b128 v[6:9], v31
	ds_read_b128 v[22:25], v30 offset:45056
	v_mov_b32_e32 v40, v0
	v_mov_b32_e32 v226, v31
	;; [unrolled: 1-line block ×3, first 2 shown]
	v_accvgpr_write_b32 a6, v40
	s_waitcnt lgkmcnt(0)
	v_add_f64 v[0:1], v[6:7], v[22:23]
	v_add_f64 v[32:33], v[24:25], v[8:9]
	v_add_f64 v[34:35], v[6:7], -v[22:23]
	v_add_f64 v[22:23], v[8:9], -v[24:25]
	s_waitcnt vmcnt(3)
	v_fma_f64 v[6:7], v[34:35], v[12:13], v[0:1]
	v_fma_f64 v[8:9], v[32:33], v[12:13], v[22:23]
	v_fma_f64 v[6:7], -v[32:33], v[10:11], v[6:7]
	v_fmac_f64_e32 v[8:9], v[34:35], v[10:11]
	ds_write_b128 v31, v[6:9]
	v_fma_f64 v[6:7], -v[34:35], v[12:13], v[0:1]
	v_lshlrev_b32_e32 v0, 4, v220
	v_fma_f64 v[8:9], v[32:33], v[12:13], -v[22:23]
	global_load_dwordx4 v[22:25], v0, s[2:3]
	v_fmac_f64_e32 v[6:7], v[32:33], v[10:11]
	v_fmac_f64_e32 v[8:9], v[34:35], v[10:11]
	v_mov_b32_e32 v38, v0
	ds_write_b128 v30, v[6:9] offset:45056
	v_add_u32_e32 v0, 0, v44
	ds_read_b128 v[6:9], v0
	ds_read_b128 v[10:13], v30 offset:43008
	v_mov_b32_e32 v31, v0
	v_mov_b32_e32 v227, v31
	;; [unrolled: 1-line block ×3, first 2 shown]
	s_waitcnt lgkmcnt(0)
	v_add_f64 v[0:1], v[6:7], v[10:11]
	v_add_f64 v[32:33], v[12:13], v[8:9]
	v_add_f64 v[34:35], v[6:7], -v[10:11]
	v_add_f64 v[12:13], v[8:9], -v[12:13]
	s_waitcnt vmcnt(3)
	v_fma_f64 v[6:7], v[34:35], v[16:17], v[0:1]
	v_fma_f64 v[8:9], v[32:33], v[16:17], v[12:13]
	v_fma_f64 v[6:7], -v[32:33], v[14:15], v[6:7]
	v_fmac_f64_e32 v[8:9], v[34:35], v[14:15]
	v_lshlrev_b32_e32 v10, 4, v190
	ds_write_b128 v31, v[6:9]
	global_load_dwordx4 v[6:9], v10, s[2:3]
	v_mov_b32_e32 v36, v10
	v_fma_f64 v[10:11], -v[34:35], v[16:17], v[0:1]
	v_fma_f64 v[12:13], v[32:33], v[16:17], -v[12:13]
	v_fmac_f64_e32 v[10:11], v[32:33], v[14:15]
	v_fmac_f64_e32 v[12:13], v[34:35], v[14:15]
	ds_write_b128 v30, v[10:13] offset:43008
	v_add_u32_e32 v0, 0, v46
	ds_read_b128 v[10:13], v0
	ds_read_b128 v[14:17], v30 offset:40960
	v_mov_b32_e32 v31, v0
	v_mov_b32_e32 v218, v31
	;; [unrolled: 1-line block ×3, first 2 shown]
	s_mov_b32 s3, 0x3fe2cf23
	s_waitcnt lgkmcnt(0)
	v_add_f64 v[0:1], v[10:11], v[14:15]
	v_add_f64 v[32:33], v[16:17], v[12:13]
	v_add_f64 v[14:15], v[10:11], -v[14:15]
	v_add_f64 v[16:17], v[12:13], -v[16:17]
	s_mov_b32 s2, s10
	s_waitcnt vmcnt(3)
	v_fma_f64 v[10:11], v[14:15], v[20:21], v[0:1]
	v_fma_f64 v[12:13], v[32:33], v[20:21], v[16:17]
	v_fma_f64 v[10:11], -v[32:33], v[18:19], v[10:11]
	v_fmac_f64_e32 v[12:13], v[14:15], v[18:19]
	ds_write_b128 v31, v[10:13]
	v_fma_f64 v[10:11], -v[14:15], v[20:21], v[0:1]
	v_fma_f64 v[12:13], v[32:33], v[20:21], -v[16:17]
	v_fmac_f64_e32 v[10:11], v[32:33], v[18:19]
	v_fmac_f64_e32 v[12:13], v[14:15], v[18:19]
	ds_write_b128 v30, v[10:13] offset:40960
	v_add_u32_e32 v0, 0, v40
	ds_read_b128 v[10:13], v0
	ds_read_b128 v[14:17], v30 offset:38912
	v_mov_b32_e32 v20, v0
	v_mov_b32_e32 v228, v20
	s_waitcnt lgkmcnt(0)
	v_add_f64 v[0:1], v[10:11], v[14:15]
	v_add_f64 v[18:19], v[16:17], v[12:13]
	v_add_f64 v[14:15], v[10:11], -v[14:15]
	v_add_f64 v[16:17], v[12:13], -v[16:17]
	s_waitcnt vmcnt(2)
	v_fma_f64 v[10:11], v[14:15], v[4:5], v[0:1]
	v_fma_f64 v[12:13], v[18:19], v[4:5], v[16:17]
	v_fma_f64 v[10:11], -v[18:19], v[2:3], v[10:11]
	v_fmac_f64_e32 v[12:13], v[14:15], v[2:3]
	ds_write_b128 v20, v[10:13]
	v_fma_f64 v[10:11], -v[14:15], v[4:5], v[0:1]
	v_fma_f64 v[12:13], v[18:19], v[4:5], -v[16:17]
	v_fmac_f64_e32 v[10:11], v[18:19], v[2:3]
	v_fmac_f64_e32 v[12:13], v[14:15], v[2:3]
	ds_write_b128 v30, v[10:13] offset:38912
	v_add_u32_e32 v0, 0, v38
	ds_read_b128 v[2:5], v0
	ds_read_b128 v[10:13], v30 offset:36864
	v_mov_b32_e32 v16, v0
	v_mov_b32_e32 v229, v16
	s_waitcnt lgkmcnt(0)
	v_add_f64 v[0:1], v[2:3], v[10:11]
	v_add_f64 v[14:15], v[12:13], v[4:5]
	v_add_f64 v[10:11], v[2:3], -v[10:11]
	v_add_f64 v[12:13], v[4:5], -v[12:13]
	;; [unrolled: 21-line block ×3, first 2 shown]
	s_waitcnt vmcnt(0)
	v_fma_f64 v[2:3], v[10:11], v[8:9], v[0:1]
	v_fma_f64 v[4:5], v[14:15], v[8:9], v[12:13]
	v_fma_f64 v[2:3], -v[14:15], v[6:7], v[2:3]
	v_fmac_f64_e32 v[4:5], v[10:11], v[6:7]
	ds_write_b128 v16, v[2:5]
	v_fma_f64 v[2:3], -v[10:11], v[8:9], v[0:1]
	v_fma_f64 v[4:5], v[14:15], v[8:9], -v[12:13]
	v_fmac_f64_e32 v[2:3], v[14:15], v[6:7]
	v_fmac_f64_e32 v[4:5], v[10:11], v[6:7]
	ds_write_b128 v30, v[2:5] offset:34816
	v_add_u32_e32 v0, 0, v42
	ds_read_b128 v[10:13], v0
	ds_read_b128 v[14:17], v30 offset:32768
	v_mov_b32_e32 v18, v0
	v_mov_b32_e32 v243, v18
	v_accvgpr_write_b32 a5, v243
	s_waitcnt lgkmcnt(0)
	v_add_f64 v[8:9], v[10:11], v[14:15]
	v_add_f64 v[4:5], v[16:17], v[12:13]
	v_add_f64 v[2:3], v[10:11], -v[14:15]
	v_add_f64 v[6:7], v[12:13], -v[16:17]
	v_fma_f64 v[0:1], v[2:3], v[28:29], v[8:9]
	v_fma_f64 v[12:13], v[4:5], v[28:29], v[6:7]
	v_fma_f64 v[10:11], -v[4:5], v[26:27], v[0:1]
	v_fmac_f64_e32 v[12:13], v[2:3], v[26:27]
	ds_write_b128 v18, v[10:13]
	v_fma_f64 v[8:9], -v[2:3], v[28:29], v[8:9]
	v_fma_f64 v[10:11], v[4:5], v[28:29], -v[6:7]
	v_fmac_f64_e32 v[8:9], v[4:5], v[26:27]
	v_fmac_f64_e32 v[10:11], v[2:3], v[26:27]
	ds_write_b128 v30, v[8:11] offset:32768
	s_waitcnt lgkmcnt(0)
	s_barrier
	s_barrier
	ds_read_b128 v[58:61], v165
	ds_read_b128 v[82:85], v165 offset:2048
	ds_read_b128 v[26:29], v165 offset:12288
	;; [unrolled: 1-line block ×29, first 2 shown]
	s_waitcnt lgkmcnt(14)
	v_add_f64 v[0:1], v[58:59], v[26:27]
	v_add_f64 v[0:1], v[0:1], v[50:51]
	;; [unrolled: 1-line block ×5, first 2 shown]
	v_fma_f64 v[122:123], -0.5, v[0:1], v[58:59]
	v_add_f64 v[0:1], v[28:29], -v[64:65]
	v_fma_f64 v[128:129], s[8:9], v[0:1], v[122:123]
	v_add_f64 v[126:127], v[52:53], -v[56:57]
	v_add_f64 v[130:131], v[26:27], -v[50:51]
	;; [unrolled: 1-line block ×3, first 2 shown]
	v_fmac_f64_e32 v[122:123], s[6:7], v[0:1]
	v_fmac_f64_e32 v[128:129], s[10:11], v[126:127]
	v_add_f64 v[130:131], v[130:131], v[132:133]
	v_fmac_f64_e32 v[122:123], s[2:3], v[126:127]
	v_fmac_f64_e32 v[128:129], s[12:13], v[130:131]
	;; [unrolled: 1-line block ×3, first 2 shown]
	v_add_f64 v[130:131], v[26:27], v[62:63]
	v_fmac_f64_e32 v[58:59], -0.5, v[130:131]
	v_fma_f64 v[134:135], s[6:7], v[126:127], v[58:59]
	v_fmac_f64_e32 v[58:59], s[8:9], v[126:127]
	v_fmac_f64_e32 v[134:135], s[10:11], v[0:1]
	;; [unrolled: 1-line block ×3, first 2 shown]
	v_add_f64 v[0:1], v[60:61], v[28:29]
	v_add_f64 v[130:131], v[50:51], -v[26:27]
	v_add_f64 v[132:133], v[54:55], -v[62:63]
	v_add_f64 v[0:1], v[0:1], v[52:53]
	v_add_f64 v[130:131], v[130:131], v[132:133]
	;; [unrolled: 1-line block ×3, first 2 shown]
	v_fmac_f64_e32 v[134:135], s[12:13], v[130:131]
	v_fmac_f64_e32 v[58:59], s[12:13], v[130:131]
	v_add_f64 v[130:131], v[0:1], v[64:65]
	v_add_f64 v[0:1], v[52:53], v[56:57]
	v_fma_f64 v[126:127], -0.5, v[0:1], v[60:61]
	v_add_f64 v[0:1], v[26:27], -v[62:63]
	v_fma_f64 v[132:133], s[6:7], v[0:1], v[126:127]
	v_add_f64 v[26:27], v[50:51], -v[54:55]
	v_add_f64 v[50:51], v[28:29], -v[52:53]
	v_add_f64 v[54:55], v[64:65], -v[56:57]
	v_fmac_f64_e32 v[126:127], s[8:9], v[0:1]
	v_fmac_f64_e32 v[132:133], s[2:3], v[26:27]
	v_add_f64 v[50:51], v[50:51], v[54:55]
	v_fmac_f64_e32 v[126:127], s[10:11], v[26:27]
	v_fmac_f64_e32 v[132:133], s[12:13], v[50:51]
	;; [unrolled: 1-line block ×3, first 2 shown]
	v_add_f64 v[50:51], v[28:29], v[64:65]
	v_fmac_f64_e32 v[60:61], -0.5, v[50:51]
	v_fma_f64 v[136:137], s[8:9], v[26:27], v[60:61]
	v_fmac_f64_e32 v[60:61], s[6:7], v[26:27]
	v_fmac_f64_e32 v[136:137], s[2:3], v[0:1]
	;; [unrolled: 1-line block ×3, first 2 shown]
	v_add_f64 v[0:1], v[46:47], v[10:11]
	s_waitcnt lgkmcnt(11)
	v_add_f64 v[0:1], v[0:1], v[14:15]
	v_add_f64 v[28:29], v[52:53], -v[28:29]
	v_add_f64 v[50:51], v[56:57], -v[64:65]
	s_waitcnt lgkmcnt(7)
	v_add_f64 v[0:1], v[0:1], v[18:19]
	v_add_f64 v[28:29], v[28:29], v[50:51]
	s_waitcnt lgkmcnt(3)
	v_add_f64 v[50:51], v[0:1], v[22:23]
	v_add_f64 v[0:1], v[14:15], v[18:19]
	v_fma_f64 v[52:53], -0.5, v[0:1], v[46:47]
	v_add_f64 v[0:1], v[12:13], -v[24:25]
	v_fmac_f64_e32 v[136:137], s[12:13], v[28:29]
	v_fmac_f64_e32 v[60:61], s[12:13], v[28:29]
	v_fma_f64 v[28:29], s[8:9], v[0:1], v[52:53]
	v_add_f64 v[26:27], v[16:17], -v[20:21]
	v_add_f64 v[54:55], v[10:11], -v[14:15]
	;; [unrolled: 1-line block ×3, first 2 shown]
	v_fmac_f64_e32 v[52:53], s[6:7], v[0:1]
	v_fmac_f64_e32 v[28:29], s[10:11], v[26:27]
	v_add_f64 v[54:55], v[54:55], v[56:57]
	v_fmac_f64_e32 v[52:53], s[2:3], v[26:27]
	v_fmac_f64_e32 v[28:29], s[12:13], v[54:55]
	;; [unrolled: 1-line block ×3, first 2 shown]
	v_add_f64 v[54:55], v[10:11], v[22:23]
	v_fmac_f64_e32 v[46:47], -0.5, v[54:55]
	v_fma_f64 v[54:55], s[6:7], v[26:27], v[46:47]
	v_fmac_f64_e32 v[46:47], s[8:9], v[26:27]
	v_fmac_f64_e32 v[54:55], s[10:11], v[0:1]
	;; [unrolled: 1-line block ×3, first 2 shown]
	v_add_f64 v[0:1], v[48:49], v[12:13]
	v_add_f64 v[56:57], v[14:15], -v[10:11]
	v_add_f64 v[62:63], v[18:19], -v[22:23]
	v_add_f64 v[0:1], v[0:1], v[16:17]
	v_add_f64 v[56:57], v[56:57], v[62:63]
	;; [unrolled: 1-line block ×3, first 2 shown]
	v_fmac_f64_e32 v[54:55], s[12:13], v[56:57]
	v_fmac_f64_e32 v[46:47], s[12:13], v[56:57]
	v_add_f64 v[56:57], v[0:1], v[24:25]
	v_add_f64 v[0:1], v[16:17], v[20:21]
	v_fma_f64 v[0:1], -0.5, v[0:1], v[48:49]
	v_add_f64 v[10:11], v[10:11], -v[22:23]
	v_fma_f64 v[62:63], s[6:7], v[10:11], v[0:1]
	v_add_f64 v[14:15], v[14:15], -v[18:19]
	v_add_f64 v[18:19], v[12:13], -v[16:17]
	;; [unrolled: 1-line block ×3, first 2 shown]
	v_fmac_f64_e32 v[0:1], s[8:9], v[10:11]
	v_fmac_f64_e32 v[62:63], s[2:3], v[14:15]
	v_add_f64 v[18:19], v[18:19], v[22:23]
	v_fmac_f64_e32 v[0:1], s[10:11], v[14:15]
	v_fmac_f64_e32 v[62:63], s[12:13], v[18:19]
	;; [unrolled: 1-line block ×3, first 2 shown]
	v_add_f64 v[18:19], v[12:13], v[24:25]
	v_fmac_f64_e32 v[48:49], -0.5, v[18:19]
	v_fma_f64 v[64:65], s[8:9], v[14:15], v[48:49]
	v_add_f64 v[12:13], v[16:17], -v[12:13]
	v_add_f64 v[16:17], v[20:21], -v[24:25]
	v_fmac_f64_e32 v[48:49], s[6:7], v[14:15]
	v_fmac_f64_e32 v[64:65], s[2:3], v[10:11]
	v_add_f64 v[12:13], v[12:13], v[16:17]
	v_fmac_f64_e32 v[48:49], s[10:11], v[10:11]
	v_fmac_f64_e32 v[64:65], s[12:13], v[12:13]
	;; [unrolled: 1-line block ×3, first 2 shown]
	v_mul_f64 v[140:141], v[64:65], s[8:9]
	v_mul_f64 v[144:145], v[0:1], s[10:11]
	;; [unrolled: 1-line block ×6, first 2 shown]
	v_fmac_f64_e32 v[64:65], s[6:7], v[54:55]
	v_fmac_f64_e32 v[148:149], s[6:7], v[46:47]
	;; [unrolled: 1-line block ×4, first 2 shown]
	v_mul_f64 v[142:143], v[48:49], s[8:9]
	v_mul_f64 v[146:147], v[28:29], s[2:3]
	v_add_f64 v[12:13], v[136:137], v[64:65]
	v_add_f64 v[28:29], v[60:61], v[148:149]
	;; [unrolled: 1-line block ×3, first 2 shown]
	v_add_f64 v[48:49], v[136:137], -v[64:65]
	v_add_f64 v[64:65], v[60:61], -v[148:149]
	;; [unrolled: 1-line block ×3, first 2 shown]
	v_add_f64 v[0:1], v[82:83], v[106:107]
	v_add_f64 v[0:1], v[0:1], v[110:111]
	v_add_f64 v[0:1], v[0:1], v[114:115]
	v_fmac_f64_e32 v[142:143], s[16:17], v[46:47]
	v_fmac_f64_e32 v[144:145], s[14:15], v[52:53]
	v_add_f64 v[126:127], v[0:1], v[118:119]
	v_add_f64 v[0:1], v[110:111], v[114:115]
	;; [unrolled: 1-line block ×4, first 2 shown]
	v_fmac_f64_e32 v[146:147], s[18:19], v[62:63]
	v_add_f64 v[62:63], v[58:59], -v[142:143]
	v_add_f64 v[58:59], v[122:123], -v[144:145]
	v_fma_f64 v[122:123], -0.5, v[0:1], v[82:83]
	v_add_f64 v[0:1], v[108:109], -v[120:121]
	v_add_f64 v[18:19], v[124:125], v[50:51]
	v_add_f64 v[14:15], v[128:129], v[138:139]
	v_fmac_f64_e32 v[140:141], s[12:13], v[54:55]
	v_add_f64 v[20:21], v[130:131], v[56:57]
	v_add_f64 v[16:17], v[132:133], v[146:147]
	v_add_f64 v[54:55], v[124:125], -v[50:51]
	v_add_f64 v[50:51], v[128:129], -v[138:139]
	;; [unrolled: 1-line block ×4, first 2 shown]
	v_fma_f64 v[130:131], s[8:9], v[0:1], v[122:123]
	v_add_f64 v[124:125], v[112:113], -v[116:117]
	v_add_f64 v[128:129], v[106:107], -v[110:111]
	;; [unrolled: 1-line block ×3, first 2 shown]
	v_fmac_f64_e32 v[122:123], s[6:7], v[0:1]
	v_fmac_f64_e32 v[130:131], s[10:11], v[124:125]
	v_add_f64 v[128:129], v[128:129], v[132:133]
	v_fmac_f64_e32 v[122:123], s[2:3], v[124:125]
	v_fmac_f64_e32 v[130:131], s[12:13], v[128:129]
	;; [unrolled: 1-line block ×3, first 2 shown]
	v_add_f64 v[128:129], v[106:107], v[118:119]
	v_fmac_f64_e32 v[82:83], -0.5, v[128:129]
	v_add_f64 v[10:11], v[134:135], v[140:141]
	v_add_f64 v[46:47], v[134:135], -v[140:141]
	v_fma_f64 v[134:135], s[6:7], v[124:125], v[82:83]
	v_fmac_f64_e32 v[82:83], s[8:9], v[124:125]
	v_fmac_f64_e32 v[134:135], s[10:11], v[0:1]
	;; [unrolled: 1-line block ×3, first 2 shown]
	v_add_f64 v[0:1], v[84:85], v[108:109]
	v_add_f64 v[128:129], v[110:111], -v[106:107]
	v_add_f64 v[132:133], v[114:115], -v[118:119]
	v_add_f64 v[0:1], v[0:1], v[112:113]
	v_add_f64 v[128:129], v[128:129], v[132:133]
	;; [unrolled: 1-line block ×3, first 2 shown]
	v_fmac_f64_e32 v[134:135], s[12:13], v[128:129]
	v_fmac_f64_e32 v[82:83], s[12:13], v[128:129]
	v_add_f64 v[128:129], v[0:1], v[120:121]
	v_add_f64 v[0:1], v[112:113], v[116:117]
	v_fma_f64 v[124:125], -0.5, v[0:1], v[84:85]
	v_add_f64 v[0:1], v[106:107], -v[118:119]
	v_fma_f64 v[132:133], s[6:7], v[0:1], v[124:125]
	v_add_f64 v[106:107], v[110:111], -v[114:115]
	v_add_f64 v[110:111], v[108:109], -v[112:113]
	;; [unrolled: 1-line block ×3, first 2 shown]
	v_fmac_f64_e32 v[124:125], s[8:9], v[0:1]
	v_fmac_f64_e32 v[132:133], s[2:3], v[106:107]
	v_add_f64 v[110:111], v[110:111], v[114:115]
	v_fmac_f64_e32 v[124:125], s[10:11], v[106:107]
	v_fmac_f64_e32 v[132:133], s[12:13], v[110:111]
	v_fmac_f64_e32 v[124:125], s[12:13], v[110:111]
	v_add_f64 v[110:111], v[108:109], v[120:121]
	v_fmac_f64_e32 v[84:85], -0.5, v[110:111]
	v_fma_f64 v[136:137], s[8:9], v[106:107], v[84:85]
	v_fmac_f64_e32 v[84:85], s[6:7], v[106:107]
	v_fmac_f64_e32 v[136:137], s[2:3], v[0:1]
	;; [unrolled: 1-line block ×3, first 2 shown]
	v_add_f64 v[0:1], v[98:99], v[86:87]
	v_add_f64 v[0:1], v[0:1], v[90:91]
	v_add_f64 v[108:109], v[112:113], -v[108:109]
	v_add_f64 v[110:111], v[116:117], -v[120:121]
	v_add_f64 v[0:1], v[0:1], v[94:95]
	v_add_f64 v[108:109], v[108:109], v[110:111]
	s_waitcnt lgkmcnt(1)
	v_add_f64 v[110:111], v[0:1], v[102:103]
	v_add_f64 v[0:1], v[90:91], v[94:95]
	v_fma_f64 v[112:113], -0.5, v[0:1], v[98:99]
	v_add_f64 v[0:1], v[88:89], -v[104:105]
	v_fmac_f64_e32 v[136:137], s[12:13], v[108:109]
	v_fmac_f64_e32 v[84:85], s[12:13], v[108:109]
	v_fma_f64 v[108:109], s[8:9], v[0:1], v[112:113]
	v_add_f64 v[106:107], v[92:93], -v[96:97]
	v_add_f64 v[114:115], v[86:87], -v[90:91]
	;; [unrolled: 1-line block ×3, first 2 shown]
	v_fmac_f64_e32 v[112:113], s[6:7], v[0:1]
	v_fmac_f64_e32 v[108:109], s[10:11], v[106:107]
	v_add_f64 v[114:115], v[114:115], v[116:117]
	v_fmac_f64_e32 v[112:113], s[2:3], v[106:107]
	v_fmac_f64_e32 v[108:109], s[12:13], v[114:115]
	;; [unrolled: 1-line block ×3, first 2 shown]
	v_add_f64 v[114:115], v[86:87], v[102:103]
	v_fmac_f64_e32 v[98:99], -0.5, v[114:115]
	v_fma_f64 v[114:115], s[6:7], v[106:107], v[98:99]
	v_fmac_f64_e32 v[98:99], s[8:9], v[106:107]
	v_fmac_f64_e32 v[114:115], s[10:11], v[0:1]
	;; [unrolled: 1-line block ×3, first 2 shown]
	v_add_f64 v[0:1], v[100:101], v[88:89]
	v_add_f64 v[116:117], v[90:91], -v[86:87]
	v_add_f64 v[118:119], v[94:95], -v[102:103]
	v_add_f64 v[0:1], v[0:1], v[92:93]
	v_add_f64 v[116:117], v[116:117], v[118:119]
	;; [unrolled: 1-line block ×3, first 2 shown]
	v_fmac_f64_e32 v[114:115], s[12:13], v[116:117]
	v_fmac_f64_e32 v[98:99], s[12:13], v[116:117]
	v_add_f64 v[116:117], v[0:1], v[104:105]
	v_add_f64 v[0:1], v[92:93], v[96:97]
	v_fma_f64 v[0:1], -0.5, v[0:1], v[100:101]
	v_add_f64 v[86:87], v[86:87], -v[102:103]
	v_fma_f64 v[118:119], s[6:7], v[86:87], v[0:1]
	v_add_f64 v[90:91], v[90:91], -v[94:95]
	v_add_f64 v[94:95], v[88:89], -v[92:93]
	;; [unrolled: 1-line block ×3, first 2 shown]
	v_fmac_f64_e32 v[0:1], s[8:9], v[86:87]
	v_fmac_f64_e32 v[118:119], s[2:3], v[90:91]
	v_add_f64 v[94:95], v[94:95], v[102:103]
	v_fmac_f64_e32 v[0:1], s[10:11], v[90:91]
	v_fmac_f64_e32 v[118:119], s[12:13], v[94:95]
	;; [unrolled: 1-line block ×3, first 2 shown]
	v_add_f64 v[94:95], v[88:89], v[104:105]
	v_fmac_f64_e32 v[100:101], -0.5, v[94:95]
	v_fma_f64 v[120:121], s[8:9], v[90:91], v[100:101]
	v_add_f64 v[88:89], v[92:93], -v[88:89]
	v_add_f64 v[92:93], v[96:97], -v[104:105]
	v_fmac_f64_e32 v[100:101], s[6:7], v[90:91]
	v_fmac_f64_e32 v[120:121], s[2:3], v[86:87]
	v_add_f64 v[88:89], v[88:89], v[92:93]
	v_fmac_f64_e32 v[100:101], s[10:11], v[86:87]
	v_fmac_f64_e32 v[120:121], s[12:13], v[88:89]
	v_fmac_f64_e32 v[100:101], s[12:13], v[88:89]
	v_mul_f64 v[140:141], v[120:121], s[8:9]
	v_mul_f64 v[144:145], v[0:1], s[10:11]
	;; [unrolled: 1-line block ×6, first 2 shown]
	v_fmac_f64_e32 v[120:121], s[6:7], v[114:115]
	v_fmac_f64_e32 v[148:149], s[6:7], v[98:99]
	;; [unrolled: 1-line block ×4, first 2 shown]
	v_mul_f64 v[142:143], v[100:101], s[8:9]
	v_mul_f64 v[146:147], v[108:109], s[2:3]
	v_add_f64 v[88:89], v[136:137], v[120:121]
	v_add_f64 v[108:109], v[84:85], v[148:149]
	;; [unrolled: 1-line block ×3, first 2 shown]
	v_add_f64 v[100:101], v[136:137], -v[120:121]
	v_add_f64 v[120:121], v[84:85], -v[148:149]
	;; [unrolled: 1-line block ×3, first 2 shown]
	v_add_f64 v[0:1], v[2:3], v[66:67]
	v_add_f64 v[0:1], v[0:1], v[70:71]
	;; [unrolled: 1-line block ×4, first 2 shown]
	v_fmac_f64_e32 v[140:141], s[12:13], v[114:115]
	v_add_f64 v[114:115], v[126:127], -v[110:111]
	v_add_f64 v[126:127], v[0:1], v[78:79]
	v_add_f64 v[0:1], v[70:71], v[74:75]
	v_fmac_f64_e32 v[142:143], s[16:17], v[98:99]
	v_fmac_f64_e32 v[144:145], s[14:15], v[112:113]
	v_fmac_f64_e32 v[146:147], s[18:19], v[118:119]
	v_fma_f64 v[124:125], -0.5, v[0:1], v[2:3]
	v_add_f64 v[0:1], v[68:69], -v[80:81]
	v_add_f64 v[90:91], v[130:131], v[138:139]
	v_add_f64 v[106:107], v[82:83], v[142:143]
	;; [unrolled: 1-line block ×5, first 2 shown]
	v_add_f64 v[110:111], v[130:131], -v[138:139]
	v_add_f64 v[118:119], v[82:83], -v[142:143]
	;; [unrolled: 1-line block ×5, first 2 shown]
	v_fma_f64 v[130:131], s[8:9], v[0:1], v[124:125]
	v_add_f64 v[122:123], v[72:73], -v[76:77]
	v_add_f64 v[128:129], v[66:67], -v[70:71]
	v_add_f64 v[132:133], v[78:79], -v[74:75]
	v_fmac_f64_e32 v[124:125], s[6:7], v[0:1]
	v_fmac_f64_e32 v[130:131], s[10:11], v[122:123]
	v_add_f64 v[128:129], v[128:129], v[132:133]
	v_fmac_f64_e32 v[124:125], s[2:3], v[122:123]
	v_fmac_f64_e32 v[130:131], s[12:13], v[128:129]
	;; [unrolled: 1-line block ×3, first 2 shown]
	v_add_f64 v[128:129], v[66:67], v[78:79]
	v_fmac_f64_e32 v[2:3], -0.5, v[128:129]
	v_add_f64 v[86:87], v[134:135], v[140:141]
	v_add_f64 v[98:99], v[134:135], -v[140:141]
	v_fma_f64 v[134:135], s[6:7], v[122:123], v[2:3]
	v_fmac_f64_e32 v[2:3], s[8:9], v[122:123]
	v_fmac_f64_e32 v[134:135], s[10:11], v[0:1]
	;; [unrolled: 1-line block ×3, first 2 shown]
	v_add_f64 v[0:1], v[4:5], v[68:69]
	v_add_f64 v[128:129], v[70:71], -v[66:67]
	v_add_f64 v[132:133], v[74:75], -v[78:79]
	v_add_f64 v[0:1], v[0:1], v[72:73]
	v_add_f64 v[128:129], v[128:129], v[132:133]
	;; [unrolled: 1-line block ×3, first 2 shown]
	v_fmac_f64_e32 v[134:135], s[12:13], v[128:129]
	v_fmac_f64_e32 v[2:3], s[12:13], v[128:129]
	v_add_f64 v[128:129], v[0:1], v[80:81]
	v_add_f64 v[0:1], v[72:73], v[76:77]
	v_fma_f64 v[122:123], -0.5, v[0:1], v[4:5]
	v_add_f64 v[0:1], v[66:67], -v[78:79]
	v_fma_f64 v[132:133], s[6:7], v[0:1], v[122:123]
	v_add_f64 v[66:67], v[70:71], -v[74:75]
	v_add_f64 v[70:71], v[68:69], -v[72:73]
	;; [unrolled: 1-line block ×3, first 2 shown]
	v_fmac_f64_e32 v[122:123], s[8:9], v[0:1]
	v_fmac_f64_e32 v[132:133], s[2:3], v[66:67]
	v_add_f64 v[70:71], v[70:71], v[74:75]
	v_fmac_f64_e32 v[122:123], s[10:11], v[66:67]
	v_fmac_f64_e32 v[132:133], s[12:13], v[70:71]
	;; [unrolled: 1-line block ×3, first 2 shown]
	v_add_f64 v[70:71], v[68:69], v[80:81]
	v_fmac_f64_e32 v[4:5], -0.5, v[70:71]
	v_fma_f64 v[136:137], s[8:9], v[66:67], v[4:5]
	v_fmac_f64_e32 v[4:5], s[6:7], v[66:67]
	v_fmac_f64_e32 v[136:137], s[2:3], v[0:1]
	;; [unrolled: 1-line block ×3, first 2 shown]
	v_add_f64 v[0:1], v[6:7], v[30:31]
	v_add_f64 v[0:1], v[0:1], v[34:35]
	v_add_f64 v[68:69], v[72:73], -v[68:69]
	v_add_f64 v[70:71], v[76:77], -v[80:81]
	v_add_f64 v[0:1], v[0:1], v[38:39]
	v_add_f64 v[68:69], v[68:69], v[70:71]
	s_waitcnt lgkmcnt(0)
	v_add_f64 v[70:71], v[0:1], v[42:43]
	v_add_f64 v[0:1], v[34:35], v[38:39]
	v_fma_f64 v[72:73], -0.5, v[0:1], v[6:7]
	v_add_f64 v[0:1], v[32:33], -v[44:45]
	v_fmac_f64_e32 v[136:137], s[12:13], v[68:69]
	v_fmac_f64_e32 v[4:5], s[12:13], v[68:69]
	v_fma_f64 v[68:69], s[8:9], v[0:1], v[72:73]
	v_add_f64 v[66:67], v[36:37], -v[40:41]
	v_add_f64 v[74:75], v[30:31], -v[34:35]
	;; [unrolled: 1-line block ×3, first 2 shown]
	v_fmac_f64_e32 v[72:73], s[6:7], v[0:1]
	v_fmac_f64_e32 v[68:69], s[10:11], v[66:67]
	v_add_f64 v[74:75], v[74:75], v[76:77]
	v_fmac_f64_e32 v[72:73], s[2:3], v[66:67]
	v_fmac_f64_e32 v[68:69], s[12:13], v[74:75]
	;; [unrolled: 1-line block ×3, first 2 shown]
	v_add_f64 v[74:75], v[30:31], v[42:43]
	v_fmac_f64_e32 v[6:7], -0.5, v[74:75]
	v_fma_f64 v[74:75], s[6:7], v[66:67], v[6:7]
	v_fmac_f64_e32 v[6:7], s[8:9], v[66:67]
	v_fmac_f64_e32 v[74:75], s[10:11], v[0:1]
	;; [unrolled: 1-line block ×3, first 2 shown]
	v_add_f64 v[0:1], v[8:9], v[32:33]
	v_add_f64 v[76:77], v[34:35], -v[30:31]
	v_add_f64 v[78:79], v[38:39], -v[42:43]
	v_add_f64 v[0:1], v[0:1], v[36:37]
	v_add_f64 v[76:77], v[76:77], v[78:79]
	;; [unrolled: 1-line block ×3, first 2 shown]
	v_fmac_f64_e32 v[74:75], s[12:13], v[76:77]
	v_fmac_f64_e32 v[6:7], s[12:13], v[76:77]
	v_add_f64 v[76:77], v[0:1], v[44:45]
	v_add_f64 v[0:1], v[36:37], v[40:41]
	v_fma_f64 v[0:1], -0.5, v[0:1], v[8:9]
	v_add_f64 v[30:31], v[30:31], -v[42:43]
	v_fma_f64 v[78:79], s[6:7], v[30:31], v[0:1]
	v_add_f64 v[34:35], v[34:35], -v[38:39]
	v_add_f64 v[38:39], v[32:33], -v[36:37]
	;; [unrolled: 1-line block ×3, first 2 shown]
	v_fmac_f64_e32 v[0:1], s[8:9], v[30:31]
	v_fmac_f64_e32 v[78:79], s[2:3], v[34:35]
	v_add_f64 v[38:39], v[38:39], v[42:43]
	v_fmac_f64_e32 v[0:1], s[10:11], v[34:35]
	v_fmac_f64_e32 v[78:79], s[12:13], v[38:39]
	;; [unrolled: 1-line block ×3, first 2 shown]
	v_add_f64 v[38:39], v[32:33], v[44:45]
	v_fmac_f64_e32 v[8:9], -0.5, v[38:39]
	v_fma_f64 v[80:81], s[8:9], v[34:35], v[8:9]
	v_add_f64 v[32:33], v[36:37], -v[32:33]
	v_add_f64 v[36:37], v[40:41], -v[44:45]
	v_fmac_f64_e32 v[8:9], s[6:7], v[34:35]
	v_fmac_f64_e32 v[80:81], s[2:3], v[30:31]
	v_add_f64 v[32:33], v[32:33], v[36:37]
	v_fmac_f64_e32 v[8:9], s[10:11], v[30:31]
	v_mul_f64 v[146:147], v[0:1], s[10:11]
	v_mul_f64 v[138:139], v[0:1], s[14:15]
	v_mul_u32_u24_e32 v0, 10, v164
	v_fmac_f64_e32 v[80:81], s[12:13], v[32:33]
	v_fmac_f64_e32 v[8:9], s[12:13], v[32:33]
	v_lshl_add_u32 v0, v0, 4, 0
	v_mul_f64 v[140:141], v[78:79], s[10:11]
	v_mul_f64 v[142:143], v[80:81], s[8:9]
	;; [unrolled: 1-line block ×6, first 2 shown]
	s_barrier
	ds_write_b128 v0, v[18:21]
	ds_write_b128 v0, v[14:17] offset:16
	ds_write_b128 v0, v[10:13] offset:32
	;; [unrolled: 1-line block ×19, first 2 shown]
	v_mul_u32_u24_e32 v0, 10, v222
	v_add_f64 v[38:39], v[126:127], v[70:71]
	v_fmac_f64_e32 v[140:141], s[18:19], v[68:69]
	v_fmac_f64_e32 v[142:143], s[12:13], v[74:75]
	;; [unrolled: 1-line block ×4, first 2 shown]
	v_add_f64 v[40:41], v[128:129], v[76:77]
	v_fmac_f64_e32 v[148:149], s[18:19], v[78:79]
	v_fmac_f64_e32 v[80:81], s[6:7], v[74:75]
	;; [unrolled: 1-line block ×4, first 2 shown]
	v_lshl_add_u32 v0, v0, 4, 0
	v_add_f64 v[34:35], v[130:131], v[140:141]
	v_add_f64 v[30:31], v[134:135], v[142:143]
	;; [unrolled: 1-line block ×8, first 2 shown]
	v_add_f64 v[74:75], v[126:127], -v[70:71]
	v_add_f64 v[70:71], v[130:131], -v[140:141]
	;; [unrolled: 1-line block ×10, first 2 shown]
	ds_write_b128 v0, v[38:41]
	ds_write_b128 v0, v[34:37] offset:16
	ds_write_b128 v0, v[30:33] offset:32
	;; [unrolled: 1-line block ×9, first 2 shown]
	v_mul_lo_u16_e32 v0, 0x67, v164
	v_lshrrev_b16_e32 v173, 10, v0
	v_mul_lo_u16_e32 v0, 10, v173
	v_sub_u16_e32 v175, v164, v0
	v_mov_b32_e32 v0, 5
	v_mul_u32_u24_sdwa v1, v175, v0 dst_sel:DWORD dst_unused:UNUSED_PAD src0_sel:BYTE_0 src1_sel:DWORD
	v_lshlrev_b32_e32 v1, 4, v1
	v_mul_lo_u16_e32 v2, 0xcd, v237
	s_waitcnt lgkmcnt(0)
	s_barrier
	global_load_dwordx4 v[82:85], v1, s[4:5]
	global_load_dwordx4 v[78:81], v1, s[4:5] offset:16
	global_load_dwordx4 v[74:77], v1, s[4:5] offset:32
	;; [unrolled: 1-line block ×3, first 2 shown]
	v_lshrrev_b16_e32 v156, 11, v2
	v_mul_lo_u16_e32 v2, 10, v156
	global_load_dwordx4 v[86:89], v1, s[4:5] offset:64
	v_sub_u16_e32 v157, v237, v2
	v_mul_u32_u24_sdwa v0, v157, v0 dst_sel:DWORD dst_unused:UNUSED_PAD src0_sel:BYTE_0 src1_sel:DWORD
	v_lshlrev_b32_e32 v0, 4, v0
	global_load_dwordx4 v[102:105], v0, s[4:5]
	global_load_dwordx4 v[98:101], v0, s[4:5] offset:16
	global_load_dwordx4 v[94:97], v0, s[4:5] offset:32
	;; [unrolled: 1-line block ×4, first 2 shown]
	v_mul_lo_u16_sdwa v0, v167, v161 dst_sel:DWORD dst_unused:UNUSED_PAD src0_sel:WORD_1 src1_sel:DWORD
	v_sub_u16_e32 v171, v232, v0
	v_mul_u32_u24_e32 v0, 5, v171
	v_lshlrev_b32_e32 v0, 4, v0
	global_load_dwordx4 v[110:113], v0, s[4:5]
	global_load_dwordx4 v[114:117], v0, s[4:5] offset:16
	global_load_dwordx4 v[122:125], v0, s[4:5] offset:48
	;; [unrolled: 1-line block ×3, first 2 shown]
	ds_read_b128 v[126:129], v236
	ds_read_b128 v[130:133], v218
	;; [unrolled: 1-line block ×3, first 2 shown]
	ds_read_b128 v[54:57], v165 offset:2048
	ds_read_b128 v[194:197], v165 offset:40960
	;; [unrolled: 1-line block ×7, first 2 shown]
	ds_read_b128 v[6:9], v233
	ds_read_b128 v[2:5], v235
	global_load_dwordx4 v[62:65], v0, s[4:5] offset:64
	ds_read_b128 v[46:49], v165 offset:14336
	ds_read_b128 v[30:33], v165 offset:16384
	;; [unrolled: 1-line block ×18, first 2 shown]
	s_mov_b32 s6, 0xe8584caa
	s_mov_b32 s7, 0xbfebb67a
	s_mov_b32 s3, 0x3febb67a
	s_mov_b32 s2, s6
	s_movk_i32 s8, 0x3c0
	s_movk_i32 s9, 0x77
	s_waitcnt vmcnt(14) lgkmcnt(14)
	v_mul_f64 v[118:119], v[128:129], v[84:85]
	v_mul_f64 v[0:1], v[126:127], v[84:85]
	v_fmac_f64_e32 v[118:119], v[126:127], v[82:83]
	v_fma_f64 v[82:83], v[128:129], v[82:83], -v[0:1]
	s_waitcnt vmcnt(13)
	v_mul_f64 v[0:1], v[130:131], v[80:81]
	v_fma_f64 v[138:139], v[132:133], v[78:79], -v[0:1]
	s_waitcnt vmcnt(12) lgkmcnt(7)
	v_mul_f64 v[0:1], v[140:141], v[76:77]
	v_mul_f64 v[136:137], v[132:133], v[80:81]
	v_fma_f64 v[80:81], v[142:143], v[74:75], -v[0:1]
	s_waitcnt vmcnt(11)
	v_mul_f64 v[0:1], v[194:195], v[72:73]
	v_fmac_f64_e32 v[136:137], v[130:131], v[78:79]
	v_mul_f64 v[78:79], v[142:143], v[76:77]
	v_fma_f64 v[142:143], v[196:197], v[70:71], -v[0:1]
	s_waitcnt vmcnt(10) lgkmcnt(3)
	v_mul_f64 v[84:85], v[150:151], v[88:89]
	v_mul_f64 v[0:1], v[148:149], v[88:89]
	v_fmac_f64_e32 v[84:85], v[148:149], v[86:87]
	v_fma_f64 v[86:87], v[150:151], v[86:87], -v[0:1]
	s_waitcnt vmcnt(9)
	v_mul_f64 v[0:1], v[210:211], v[104:105]
	v_fmac_f64_e32 v[78:79], v[140:141], v[74:75]
	v_mul_f64 v[140:141], v[196:197], v[72:73]
	v_fma_f64 v[72:73], v[212:213], v[102:103], -v[0:1]
	s_waitcnt vmcnt(8)
	v_mul_f64 v[0:1], v[214:215], v[100:101]
	v_fma_f64 v[130:131], v[216:217], v[98:99], -v[0:1]
	s_waitcnt vmcnt(7)
	;; [unrolled: 3-line block ×5, first 2 shown]
	v_mul_f64 v[0:1], v[244:245], v[112:113]
	v_fmac_f64_e32 v[140:141], v[194:195], v[70:71]
	v_mul_f64 v[70:71], v[212:213], v[104:105]
	v_fma_f64 v[104:105], v[246:247], v[110:111], -v[0:1]
	s_waitcnt vmcnt(3)
	v_mul_f64 v[0:1], v[248:249], v[116:117]
	v_fmac_f64_e32 v[70:71], v[210:211], v[102:103]
	v_mul_f64 v[102:103], v[246:247], v[112:113]
	v_fma_f64 v[112:113], v[250:251], v[114:115], -v[0:1]
	s_waitcnt vmcnt(1)
	v_mul_f64 v[0:1], v[252:253], v[146:147]
	v_mul_f64 v[120:121], v[208:209], v[108:109]
	v_fma_f64 v[108:109], v[254:255], v[144:145], -v[0:1]
	s_waitcnt lgkmcnt(2)
	v_mul_f64 v[0:1], v[152:153], v[124:125]
	v_fmac_f64_e32 v[102:103], v[244:245], v[110:111]
	v_mul_f64 v[110:111], v[250:251], v[116:117]
	v_fma_f64 v[116:117], v[154:155], v[122:123], -v[0:1]
	v_mul_lo_u16_sdwa v0, v160, v161 dst_sel:DWORD dst_unused:UNUSED_PAD src0_sel:WORD_1 src1_sel:DWORD
	v_sub_u16_e32 v159, v222, v0
	v_fmac_f64_e32 v[120:121], v[206:207], v[106:107]
	v_mul_f64 v[106:107], v[254:255], v[146:147]
	v_mul_u32_u24_e32 v0, 5, v159
	v_fmac_f64_e32 v[106:107], v[252:253], v[144:145]
	v_lshlrev_b32_e32 v148, 4, v0
	s_waitcnt vmcnt(0) lgkmcnt(0)
	v_mul_f64 v[144:145], v[68:69], v[64:65]
	v_mul_f64 v[0:1], v[66:67], v[64:65]
	v_fmac_f64_e32 v[144:145], v[66:67], v[62:63]
	v_fma_f64 v[146:147], v[68:69], v[62:63], -v[0:1]
	v_add_f64 v[62:63], v[136:137], v[140:141]
	v_add_f64 v[0:1], v[58:59], v[136:137]
	v_fmac_f64_e32 v[58:59], -0.5, v[62:63]
	v_add_f64 v[62:63], v[138:139], -v[142:143]
	v_add_f64 v[66:67], v[138:139], v[142:143]
	v_fma_f64 v[64:65], s[6:7], v[62:63], v[58:59]
	v_fmac_f64_e32 v[58:59], s[2:3], v[62:63]
	v_add_f64 v[62:63], v[60:61], v[138:139]
	v_fmac_f64_e32 v[60:61], -0.5, v[66:67]
	v_add_f64 v[66:67], v[136:137], -v[140:141]
	v_add_f64 v[88:89], v[78:79], v[84:85]
	v_fma_f64 v[68:69], s[2:3], v[66:67], v[60:61]
	v_fmac_f64_e32 v[60:61], s[6:7], v[66:67]
	v_add_f64 v[66:67], v[118:119], v[78:79]
	v_fmac_f64_e32 v[118:119], -0.5, v[88:89]
	v_add_f64 v[88:89], v[80:81], -v[86:87]
	v_mul_f64 v[132:133], v[200:201], v[92:93]
	v_fma_f64 v[92:93], s[6:7], v[88:89], v[118:119]
	v_fmac_f64_e32 v[118:119], s[2:3], v[88:89]
	v_add_f64 v[88:89], v[82:83], v[80:81]
	v_add_f64 v[80:81], v[80:81], v[86:87]
	v_fmac_f64_e32 v[82:83], -0.5, v[80:81]
	v_add_f64 v[78:79], v[78:79], -v[84:85]
	v_fma_f64 v[80:81], s[2:3], v[78:79], v[82:83]
	v_fmac_f64_e32 v[82:83], s[6:7], v[78:79]
	v_mul_f64 v[126:127], v[216:217], v[100:101]
	v_add_f64 v[66:67], v[66:67], v[84:85]
	v_mul_f64 v[78:79], v[80:81], s[6:7]
	v_mul_f64 v[84:85], v[82:83], s[6:7]
	v_fmac_f64_e32 v[126:127], v[214:215], v[98:99]
	v_fmac_f64_e32 v[132:133], v[198:199], v[90:91]
	v_fmac_f64_e32 v[78:79], 0.5, v[92:93]
	v_fmac_f64_e32 v[84:85], -0.5, v[118:119]
	v_mul_f64 v[74:75], v[204:205], v[96:97]
	v_add_f64 v[0:1], v[0:1], v[140:141]
	v_add_f64 v[96:97], v[88:89], v[86:87]
	;; [unrolled: 1-line block ×4, first 2 shown]
	v_mul_f64 v[136:137], v[82:83], -0.5
	v_add_f64 v[82:83], v[64:65], -v[78:79]
	v_add_f64 v[78:79], v[58:59], -v[84:85]
	v_add_f64 v[58:59], v[126:127], v[132:133]
	v_fmac_f64_e32 v[74:75], v[202:203], v[94:95]
	v_add_f64 v[62:63], v[62:63], v[142:143]
	v_add_f64 v[98:99], v[0:1], v[66:67]
	v_add_f64 v[94:95], v[0:1], -v[66:67]
	v_add_f64 v[0:1], v[54:55], v[126:127]
	v_fmac_f64_e32 v[54:55], -0.5, v[58:59]
	v_add_f64 v[58:59], v[130:131], -v[134:135]
	v_add_f64 v[100:101], v[62:63], v[96:97]
	v_add_f64 v[96:97], v[62:63], -v[96:97]
	v_fma_f64 v[62:63], s[6:7], v[58:59], v[54:55]
	v_fmac_f64_e32 v[54:55], s[2:3], v[58:59]
	v_add_f64 v[58:59], v[56:57], v[130:131]
	v_add_f64 v[64:65], v[58:59], v[134:135]
	;; [unrolled: 1-line block ×3, first 2 shown]
	v_fmac_f64_e32 v[56:57], -0.5, v[58:59]
	v_add_f64 v[58:59], v[126:127], -v[132:133]
	v_fmac_f64_e32 v[136:137], s[2:3], v[118:119]
	v_fma_f64 v[118:119], s[2:3], v[58:59], v[56:57]
	v_fmac_f64_e32 v[56:57], s[6:7], v[58:59]
	v_add_f64 v[58:59], v[70:71], v[74:75]
	v_mul_f64 v[80:81], v[80:81], 0.5
	v_add_f64 v[130:131], v[58:59], v[120:121]
	v_add_f64 v[58:59], v[74:75], v[120:121]
	v_fmac_f64_e32 v[80:81], s[2:3], v[92:93]
	v_fmac_f64_e32 v[70:71], -0.5, v[58:59]
	v_add_f64 v[58:59], v[76:77], -v[128:129]
	v_add_f64 v[92:93], v[68:69], v[80:81]
	v_add_f64 v[88:89], v[60:61], v[136:137]
	v_add_f64 v[84:85], v[68:69], -v[80:81]
	v_add_f64 v[80:81], v[60:61], -v[136:137]
	v_fma_f64 v[60:61], s[6:7], v[58:59], v[70:71]
	v_fmac_f64_e32 v[70:71], s[2:3], v[58:59]
	v_add_f64 v[58:59], v[72:73], v[76:77]
	v_add_f64 v[0:1], v[0:1], v[132:133]
	;; [unrolled: 1-line block ×4, first 2 shown]
	v_fmac_f64_e32 v[72:73], -0.5, v[58:59]
	v_add_f64 v[58:59], v[74:75], -v[120:121]
	v_fma_f64 v[68:69], s[2:3], v[58:59], v[72:73]
	v_fmac_f64_e32 v[72:73], s[6:7], v[58:59]
	v_fmac_f64_e32 v[110:111], v[248:249], v[114:115]
	v_mul_f64 v[114:115], v[154:155], v[124:125]
	v_mul_f64 v[142:143], v[72:73], -0.5
	v_fmac_f64_e32 v[114:115], v[152:153], v[122:123]
	global_load_dwordx4 v[122:125], v148, s[4:5]
	v_mul_f64 v[120:121], v[68:69], s[6:7]
	v_mul_f64 v[140:141], v[68:69], 0.5
	v_fmac_f64_e32 v[142:143], s[2:3], v[70:71]
	v_fmac_f64_e32 v[120:121], 0.5, v[60:61]
	v_mul_f64 v[138:139], v[72:73], s[6:7]
	v_fmac_f64_e32 v[140:141], s[2:3], v[60:61]
	v_add_f64 v[60:61], v[56:57], v[142:143]
	v_add_f64 v[56:57], v[56:57], -v[142:143]
	v_mul_u32_u24_e32 v142, 0x199a, v192
	v_add_f64 v[74:75], v[0:1], v[130:131]
	v_fmac_f64_e32 v[138:139], -0.5, v[70:71]
	global_load_dwordx4 v[126:129], v148, s[4:5] offset:32
	global_load_dwordx4 v[134:137], v148, s[4:5] offset:16
	v_add_f64 v[70:71], v[0:1], -v[130:131]
	v_mul_lo_u16_sdwa v0, v142, v161 dst_sel:DWORD dst_unused:UNUSED_PAD src0_sel:WORD_1 src1_sel:DWORD
	v_sub_u16_e32 v0, v192, v0
	v_add_f64 v[76:77], v[64:65], v[132:133]
	v_add_f64 v[72:73], v[64:65], -v[132:133]
	global_load_dwordx4 v[130:133], v148, s[4:5] offset:48
	s_nop 0
	global_load_dwordx4 v[148:151], v148, s[4:5] offset:64
	v_mul_u32_u24_e32 v1, 5, v0
	v_lshlrev_b32_e32 v1, 4, v1
	global_load_dwordx4 v[194:197], v1, s[4:5] offset:16
	global_load_dwordx4 v[198:201], v1, s[4:5]
	global_load_dwordx4 v[202:205], v1, s[4:5] offset:48
	global_load_dwordx4 v[206:209], v1, s[4:5] offset:32
	;; [unrolled: 1-line block ×3, first 2 shown]
	v_add_f64 v[68:69], v[118:119], v[140:141]
	v_add_f64 v[64:65], v[118:119], -v[140:141]
	v_add_f64 v[118:119], v[50:51], v[110:111]
	v_add_f64 v[58:59], v[54:55], v[138:139]
	v_add_f64 v[54:55], v[54:55], -v[138:139]
	v_add_f64 v[138:139], v[118:119], v[114:115]
	v_add_f64 v[118:119], v[110:111], v[114:115]
	v_fmac_f64_e32 v[50:51], -0.5, v[118:119]
	v_add_f64 v[118:119], v[112:113], -v[116:117]
	v_fma_f64 v[140:141], s[6:7], v[118:119], v[50:51]
	v_fmac_f64_e32 v[50:51], s[2:3], v[118:119]
	v_add_f64 v[118:119], v[52:53], v[112:113]
	v_add_f64 v[112:113], v[112:113], v[116:117]
	v_fmac_f64_e32 v[52:53], -0.5, v[112:113]
	v_add_f64 v[110:111], v[110:111], -v[114:115]
	v_fma_f64 v[154:155], s[2:3], v[110:111], v[52:53]
	v_fmac_f64_e32 v[52:53], s[6:7], v[110:111]
	v_add_f64 v[110:111], v[102:103], v[106:107]
	v_add_f64 v[114:115], v[110:111], v[144:145]
	;; [unrolled: 1-line block ×3, first 2 shown]
	v_fmac_f64_e32 v[102:103], -0.5, v[110:111]
	v_add_f64 v[110:111], v[108:109], -v[146:147]
	v_fma_f64 v[112:113], s[6:7], v[110:111], v[102:103]
	v_fmac_f64_e32 v[102:103], s[2:3], v[110:111]
	v_add_f64 v[110:111], v[104:105], v[108:109]
	v_add_f64 v[108:109], v[108:109], v[146:147]
	v_fmac_f64_e32 v[104:105], -0.5, v[108:109]
	v_add_f64 v[106:107], v[106:107], -v[144:145]
	v_add_f64 v[152:153], v[118:119], v[116:117]
	v_add_f64 v[116:117], v[110:111], v[146:147]
	v_fma_f64 v[108:109], s[2:3], v[106:107], v[104:105]
	v_add_f64 v[66:67], v[62:63], v[120:121]
	v_add_f64 v[62:63], v[62:63], -v[120:121]
	v_fmac_f64_e32 v[104:105], s[6:7], v[106:107]
	v_mul_f64 v[144:145], v[108:109], s[6:7]
	v_add_f64 v[120:121], v[152:153], v[116:117]
	v_add_f64 v[116:117], v[152:153], -v[116:117]
	v_mov_b32_e32 v153, 4
	v_add_f64 v[118:119], v[138:139], v[114:115]
	v_fmac_f64_e32 v[144:145], 0.5, v[112:113]
	v_mul_f64 v[146:147], v[104:105], s[6:7]
	v_mul_f64 v[214:215], v[104:105], -0.5
	v_add_f64 v[114:115], v[138:139], -v[114:115]
	v_mul_u32_u24_e32 v1, 0x3c0, v173
	v_lshlrev_b32_sdwa v138, v153, v175 dst_sel:DWORD dst_unused:UNUSED_PAD src0_sel:DWORD src1_sel:BYTE_0
	v_add_f64 v[110:111], v[140:141], v[144:145]
	v_fmac_f64_e32 v[146:147], -0.5, v[102:103]
	v_fmac_f64_e32 v[214:215], s[2:3], v[102:103]
	v_add_f64 v[102:103], v[140:141], -v[144:145]
	v_add3_u32 v144, 0, v1, v138
	v_mul_u32_u24_e32 v1, 0x3c0, v156
	v_lshlrev_b32_sdwa v138, v153, v157 dst_sel:DWORD dst_unused:UNUSED_PAD src0_sel:DWORD src1_sel:BYTE_0
	v_add3_u32 v143, 0, v1, v138
	v_mul_f64 v[186:187], v[108:109], 0.5
	v_fmac_f64_e32 v[186:187], s[2:3], v[112:113]
	s_waitcnt vmcnt(9)
	v_mul_f64 v[138:139], v[48:49], v[124:125]
	v_fmac_f64_e32 v[138:139], v[46:47], v[122:123]
	v_mul_f64 v[46:47], v[46:47], v[124:125]
	v_fma_f64 v[122:123], v[48:49], v[122:123], -v[46:47]
	s_barrier
	ds_write_b128 v144, v[98:101]
	ds_write_b128 v144, v[90:93] offset:160
	ds_write_b128 v144, v[86:89] offset:320
	;; [unrolled: 1-line block ×5, first 2 shown]
	ds_write_b128 v143, v[74:77]
	ds_write_b128 v143, v[66:69] offset:160
	ds_write_b128 v143, v[58:61] offset:320
	;; [unrolled: 1-line block ×5, first 2 shown]
	v_lshlrev_b32_e32 v55, 4, v159
	v_lshlrev_b32_e32 v0, 4, v0
	v_add_f64 v[106:107], v[50:51], v[146:147]
	v_add_f64 v[112:113], v[154:155], v[186:187]
	s_waitcnt vmcnt(8)
	v_mul_f64 v[124:125], v[16:17], v[128:129]
	v_fmac_f64_e32 v[124:125], v[14:15], v[126:127]
	v_mul_f64 v[14:15], v[14:15], v[128:129]
	v_fma_f64 v[14:15], v[16:17], v[126:127], -v[14:15]
	s_waitcnt vmcnt(7)
	v_mul_f64 v[140:141], v[44:45], v[136:137]
	v_fmac_f64_e32 v[140:141], v[42:43], v[134:135]
	s_waitcnt vmcnt(6)
	v_mul_f64 v[16:17], v[38:39], v[132:133]
	v_fma_f64 v[128:129], v[40:41], v[130:131], -v[16:17]
	s_waitcnt vmcnt(5)
	v_mul_f64 v[16:17], v[12:13], v[150:151]
	v_fmac_f64_e32 v[16:17], v[10:11], v[148:149]
	v_mul_f64 v[10:11], v[10:11], v[150:151]
	v_mul_f64 v[42:43], v[42:43], v[136:137]
	v_fma_f64 v[10:11], v[12:13], v[148:149], -v[10:11]
	s_waitcnt vmcnt(3)
	v_mul_f64 v[12:13], v[30:31], v[200:201]
	v_fma_f64 v[134:135], v[44:45], v[134:135], -v[42:43]
	v_fma_f64 v[42:43], v[32:33], v[198:199], -v[12:13]
	v_mul_f64 v[12:13], v[26:27], v[196:197]
	v_fma_f64 v[44:45], v[28:29], v[194:195], -v[12:13]
	s_waitcnt vmcnt(1)
	v_mul_f64 v[12:13], v[34:35], v[208:209]
	v_mul_f64 v[126:127], v[40:41], v[132:133]
	;; [unrolled: 1-line block ×3, first 2 shown]
	v_fma_f64 v[32:33], v[36:37], v[206:207], -v[12:13]
	v_mul_f64 v[12:13], v[22:23], v[204:205]
	v_fma_f64 v[48:49], v[24:25], v[202:203], -v[12:13]
	s_waitcnt vmcnt(0)
	v_mul_f64 v[12:13], v[18:19], v[212:213]
	v_fmac_f64_e32 v[126:127], v[38:39], v[130:131]
	v_fmac_f64_e32 v[40:41], v[30:31], v[198:199]
	v_mul_f64 v[30:31], v[36:37], v[208:209]
	v_mul_f64 v[46:47], v[24:25], v[204:205]
	v_fma_f64 v[36:37], v[20:21], v[210:211], -v[12:13]
	v_add_f64 v[12:13], v[6:7], v[140:141]
	v_fmac_f64_e32 v[46:47], v[22:23], v[202:203]
	v_add_f64 v[22:23], v[12:13], v[126:127]
	v_add_f64 v[12:13], v[140:141], v[126:127]
	v_fmac_f64_e32 v[6:7], -0.5, v[12:13]
	v_add_f64 v[12:13], v[134:135], -v[128:129]
	v_fma_f64 v[24:25], s[6:7], v[12:13], v[6:7]
	v_fmac_f64_e32 v[6:7], s[2:3], v[12:13]
	v_add_f64 v[12:13], v[8:9], v[134:135]
	v_mul_f64 v[38:39], v[28:29], v[196:197]
	v_add_f64 v[28:29], v[12:13], v[128:129]
	v_add_f64 v[12:13], v[134:135], v[128:129]
	v_fmac_f64_e32 v[8:9], -0.5, v[12:13]
	v_add_f64 v[12:13], v[140:141], -v[126:127]
	v_fma_f64 v[126:127], s[2:3], v[12:13], v[8:9]
	v_fmac_f64_e32 v[8:9], s[6:7], v[12:13]
	v_add_f64 v[12:13], v[138:139], v[124:125]
	v_fmac_f64_e32 v[38:39], v[26:27], v[194:195]
	v_add_f64 v[26:27], v[12:13], v[16:17]
	v_add_f64 v[12:13], v[124:125], v[16:17]
	v_fmac_f64_e32 v[138:139], -0.5, v[12:13]
	v_add_f64 v[12:13], v[14:15], -v[10:11]
	v_fmac_f64_e32 v[30:31], v[34:35], v[206:207]
	v_mul_f64 v[34:35], v[20:21], v[212:213]
	v_fma_f64 v[20:21], s[6:7], v[12:13], v[138:139]
	v_fmac_f64_e32 v[138:139], s[2:3], v[12:13]
	v_add_f64 v[12:13], v[122:123], v[14:15]
	v_add_f64 v[128:129], v[12:13], v[10:11]
	;; [unrolled: 1-line block ×3, first 2 shown]
	v_fmac_f64_e32 v[122:123], -0.5, v[10:11]
	v_add_f64 v[10:11], v[124:125], -v[16:17]
	v_fma_f64 v[12:13], s[2:3], v[10:11], v[122:123]
	v_fmac_f64_e32 v[122:123], s[6:7], v[10:11]
	v_mul_f64 v[124:125], v[12:13], s[6:7]
	v_fmac_f64_e32 v[124:125], 0.5, v[20:21]
	v_mul_f64 v[130:131], v[122:123], s[6:7]
	v_mul_f64 v[122:123], v[122:123], -0.5
	v_add_f64 v[14:15], v[22:23], v[26:27]
	v_add_f64 v[10:11], v[24:25], v[124:125]
	v_mul_f64 v[132:133], v[12:13], 0.5
	v_fmac_f64_e32 v[122:123], s[2:3], v[138:139]
	v_add_f64 v[26:27], v[22:23], -v[26:27]
	v_add_f64 v[22:23], v[24:25], -v[124:125]
	v_add_f64 v[124:125], v[38:39], v[46:47]
	v_fmac_f64_e32 v[132:133], s[2:3], v[20:21]
	v_add_f64 v[20:21], v[8:9], v[122:123]
	v_add_f64 v[8:9], v[8:9], -v[122:123]
	v_add_f64 v[122:123], v[2:3], v[38:39]
	v_fmac_f64_e32 v[2:3], -0.5, v[124:125]
	v_add_f64 v[124:125], v[44:45], -v[48:49]
	v_add_f64 v[12:13], v[126:127], v[132:133]
	v_add_f64 v[24:25], v[126:127], -v[132:133]
	v_fma_f64 v[126:127], s[6:7], v[124:125], v[2:3]
	v_fmac_f64_e32 v[2:3], s[2:3], v[124:125]
	v_add_f64 v[124:125], v[4:5], v[44:45]
	v_add_f64 v[44:45], v[44:45], v[48:49]
	v_fmac_f64_e32 v[4:5], -0.5, v[44:45]
	v_add_f64 v[38:39], v[38:39], -v[46:47]
	v_fmac_f64_e32 v[34:35], v[18:19], v[210:211]
	v_fma_f64 v[44:45], s[2:3], v[38:39], v[4:5]
	v_fmac_f64_e32 v[4:5], s[6:7], v[38:39]
	v_add_f64 v[38:39], v[40:41], v[30:31]
	v_add_f64 v[122:123], v[122:123], v[46:47]
	;; [unrolled: 1-line block ×4, first 2 shown]
	v_fmac_f64_e32 v[40:41], -0.5, v[38:39]
	v_add_f64 v[38:39], v[32:33], -v[36:37]
	v_add_f64 v[124:125], v[124:125], v[48:49]
	v_fma_f64 v[48:49], s[6:7], v[38:39], v[40:41]
	v_fmac_f64_e32 v[40:41], s[2:3], v[38:39]
	v_add_f64 v[38:39], v[42:43], v[32:33]
	v_add_f64 v[32:33], v[32:33], v[36:37]
	v_fmac_f64_e32 v[42:43], -0.5, v[32:33]
	v_add_f64 v[30:31], v[30:31], -v[34:35]
	v_fma_f64 v[32:33], s[2:3], v[30:31], v[42:43]
	v_fmac_f64_e32 v[42:43], s[6:7], v[30:31]
	v_mul_f64 v[134:135], v[32:33], 0.5
	v_mul_f64 v[136:137], v[42:43], -0.5
	v_fmac_f64_e32 v[134:135], s[2:3], v[48:49]
	v_fmac_f64_e32 v[136:137], s[2:3], v[40:41]
	s_mov_b32 s3, 0x7060302
	v_perm_b32 v1, v142, v160, s3
	v_fmac_f64_e32 v[130:131], -0.5, v[138:139]
	v_pk_mul_lo_u16 v1, v1, s8 op_sel_hi:[1,0]
	v_add_f64 v[18:19], v[6:7], v[130:131]
	v_add_f64 v[16:17], v[28:29], v[128:129]
	v_add_f64 v[6:7], v[6:7], -v[130:131]
	v_add_f64 v[28:29], v[28:29], -v[128:129]
	v_add_f64 v[128:129], v[38:39], v[36:37]
	v_mul_f64 v[130:131], v[32:33], s[6:7]
	v_mul_f64 v[132:133], v[42:43], s[6:7]
	v_and_b32_e32 v54, 0xffc0, v1
	v_lshrrev_b32_e32 v1, 16, v1
	v_add_f64 v[34:35], v[122:123], v[46:47]
	v_fmac_f64_e32 v[130:131], 0.5, v[48:49]
	v_fmac_f64_e32 v[132:133], -0.5, v[40:41]
	v_add_f64 v[36:37], v[124:125], v[128:129]
	v_add3_u32 v54, 0, v54, v55
	v_add3_u32 v0, 0, v1, v0
	v_add_f64 v[30:31], v[126:127], v[130:131]
	v_add_f64 v[38:39], v[2:3], v[132:133]
	;; [unrolled: 1-line block ×4, first 2 shown]
	v_add_f64 v[46:47], v[122:123], -v[46:47]
	v_add_f64 v[42:43], v[126:127], -v[130:131]
	;; [unrolled: 1-line block ×6, first 2 shown]
	ds_write_b128 v54, v[14:17]
	ds_write_b128 v54, v[10:13] offset:160
	ds_write_b128 v54, v[18:21] offset:320
	;; [unrolled: 1-line block ×5, first 2 shown]
	ds_write_b128 v0, v[34:37]
	ds_write_b128 v0, v[30:33] offset:160
	ds_write_b128 v0, v[38:41] offset:320
	;; [unrolled: 1-line block ×5, first 2 shown]
	v_mul_u32_u24_sdwa v0, v167, s8 dst_sel:DWORD dst_unused:UNUSED_PAD src0_sel:WORD_1 src1_sel:DWORD
	v_lshlrev_b32_e32 v1, 4, v171
	v_add3_u32 v0, 0, v0, v1
	v_add_f64 v[108:109], v[52:53], v[214:215]
	v_add_f64 v[50:51], v[50:51], -v[146:147]
	v_add_f64 v[104:105], v[154:155], -v[186:187]
	;; [unrolled: 1-line block ×3, first 2 shown]
	ds_write_b128 v0, v[118:121]
	ds_write_b128 v0, v[110:113] offset:160
	ds_write_b128 v0, v[106:109] offset:320
	;; [unrolled: 1-line block ×5, first 2 shown]
	v_mul_lo_u16_e32 v0, 0x89, v164
	v_lshrrev_b16_e32 v134, 13, v0
	v_mul_lo_u16_e32 v0, 60, v134
	v_mul_lo_u16_e32 v154, 0x89, v237
	v_sub_u16_e32 v0, v164, v0
	v_lshrrev_b16_e32 v1, 13, v154
	v_lshlrev_b32_sdwa v135, v153, v0 dst_sel:DWORD dst_unused:UNUSED_PAD src0_sel:DWORD src1_sel:BYTE_0
	v_mul_lo_u16_e32 v0, 60, v1
	v_sub_u16_e32 v0, v237, v0
	s_waitcnt lgkmcnt(0)
	s_barrier
	v_lshlrev_b32_sdwa v156, v153, v0 dst_sel:DWORD dst_unused:UNUSED_PAD src0_sel:DWORD src1_sel:BYTE_0
	global_load_dwordx4 v[78:81], v135, s[4:5] offset:800
	global_load_dwordx4 v[58:61], v156, s[4:5] offset:800
	s_mov_b32 s2, 0x8889
	v_mul_u32_u24_sdwa v0, v222, s2 dst_sel:DWORD dst_unused:UNUSED_PAD src0_sel:WORD_0 src1_sel:DWORD
	v_lshrrev_b32_e32 v159, 21, v0
	v_mul_lo_u16_e32 v0, 60, v159
	v_mul_u32_u24_sdwa v234, v192, s2 dst_sel:DWORD dst_unused:UNUSED_PAD src0_sel:WORD_0 src1_sel:DWORD
	v_sub_u16_e32 v0, v222, v0
	v_lshrrev_b32_e32 v186, 21, v234
	v_lshlrev_b32_e32 v161, 4, v0
	v_mul_lo_u16_e32 v0, 60, v186
	v_sub_u16_e32 v0, v192, v0
	v_mov_b32_e32 v157, 60
	v_lshlrev_b32_e32 v187, 4, v0
	v_mul_lo_u16_sdwa v0, v172, v157 dst_sel:DWORD dst_unused:UNUSED_PAD src0_sel:WORD_1 src1_sel:DWORD
	global_load_dwordx4 v[74:77], v161, s[4:5] offset:800
	global_load_dwordx4 v[82:85], v187, s[4:5] offset:800
	v_sub_u16_e32 v0, v232, v0
	v_lshlrev_b32_e32 v194, 4, v0
	global_load_dwordx4 v[86:89], v194, s[4:5] offset:800
	v_mov_b32_e32 v167, 0
	ds_read_b128 v[94:97], v165
	ds_read_b128 v[106:109], v165 offset:2048
	ds_read_b128 v[90:93], v165 offset:32768
	ds_read_b128 v[122:125], v165 offset:34816
	ds_read_b128 v[126:129], v233
	v_mov_b32_e32 v169, v167
	v_accvgpr_write_b32 a28, v168
	ds_read_b128 v[98:101], v235
	ds_read_b128 v[130:133], v165 offset:30720
	ds_read_b128 v[102:105], v165 offset:8192
	;; [unrolled: 1-line block ×4, first 2 shown]
	ds_read_b128 v[110:113], v236
	v_mov_b32_e32 v152, v221
	v_accvgpr_write_b32 a29, v169
	v_mul_u32_u24_e32 v155, 0x445, v152
	v_mov_b32_e32 v169, v242
	v_mul_lo_u16_sdwa v0, v155, v157 dst_sel:DWORD dst_unused:UNUSED_PAD src0_sel:WORD_1 src1_sel:DWORD
	v_mul_u32_u24_e32 v173, 0x445, v169
	v_sub_u16_e32 v0, v152, v0
	v_lshlrev_b32_e32 v0, 4, v0
	ds_read_b128 v[70:73], v219
	ds_read_b128 v[118:121], v165 offset:40960
	ds_read_b128 v[114:117], v165 offset:43008
	ds_read_b128 v[54:57], v191
	ds_read_b128 v[50:53], v226
	ds_read_b128 v[66:69], v165 offset:45056
	ds_read_b128 v[62:65], v165 offset:47104
	ds_read_b128 v[38:41], v227
	;; [unrolled: 4-line block ×4, first 2 shown]
	ds_read_b128 v[2:5], v243
	ds_read_b128 v[14:17], v165 offset:57344
	ds_read_b128 v[10:13], v165 offset:59392
	global_load_dwordx4 v[142:145], v0, s[4:5] offset:800
	v_mov_b32_e32 v189, v167
	v_accvgpr_write_b32 a26, v188
	v_accvgpr_write_b32 a27, v189
	v_mov_b32_e32 v188, v235
	v_mov_b32_e32 v235, v158
	v_accvgpr_write_b32 a7, v167
	v_mul_u32_u24_e32 v158, 0x445, v235
	v_accvgpr_mov_b32 a11, a7
	v_mov_b32_e32 v181, v167
	v_accvgpr_write_b32 a18, v180
	v_accvgpr_mov_b32 a10, a6
	v_mov_b32_e32 v163, v167
	v_accvgpr_write_b32 a6, v162
	v_mov_b32_e32 v221, v193
	v_mul_u32_u24_e32 v1, 0x780, v1
	v_accvgpr_write_b32 a19, v181
	v_accvgpr_write_b32 a7, v163
	v_add3_u32 v181, 0, v1, v156
	v_mul_u32_u24_e32 v1, 0x780, v159
	v_mov_b32_e32 v175, v167
	v_accvgpr_write_b32 a12, v174
	s_movk_i32 s7, 0x780
	v_add3_u32 v161, 0, v1, v161
	v_mul_u32_u24_e32 v1, 0x780, v186
	v_accvgpr_write_b32 a13, v175
	v_add3_u32 v159, 0, v1, v187
	v_mul_u32_u24_sdwa v1, v172, s7 dst_sel:DWORD dst_unused:UNUSED_PAD src0_sel:WORD_1 src1_sel:DWORD
	v_mov_b32_e32 v175, v239
	v_mov_b32_e32 v183, v167
	v_accvgpr_write_b32 a24, v182
	v_mov_b32_e32 v177, v167
	v_accvgpr_write_b32 a14, v176
	v_add3_u32 v156, 0, v1, v194
	v_mul_u32_u24_e32 v1, 0x889, v175
	v_accvgpr_write_b32 a25, v183
	v_accvgpr_write_b32 a15, v177
	v_mov_b32_e32 v146, v219
	v_mov_b32_e32 v147, v218
	v_mul_u32_u24_e32 v134, 0x780, v134
	v_mov_b32_e32 v218, v241
	v_mov_b32_e32 v219, v240
	v_lshrrev_b32_e32 v182, 17, v1
	v_mov_b32_e32 v179, v167
	v_accvgpr_write_b32 a16, v178
	s_waitcnt vmcnt(5) lgkmcnt(14)
	v_mul_f64 v[140:141], v[132:133], v[80:81]
	v_mul_f64 v[80:81], v[130:131], v[80:81]
	v_fmac_f64_e32 v[140:141], v[130:131], v[78:79]
	v_fma_f64 v[78:79], v[132:133], v[78:79], -v[80:81]
	s_waitcnt vmcnt(4)
	v_mul_f64 v[80:81], v[92:93], v[60:61]
	v_fmac_f64_e32 v[80:81], v[90:91], v[58:59]
	v_mul_f64 v[60:61], v[90:91], v[60:61]
	v_mul_lo_u16_sdwa v90, v173, v157 dst_sel:DWORD dst_unused:UNUSED_PAD src0_sel:WORD_1 src1_sel:DWORD
	v_sub_u16_e32 v90, v169, v90
	v_lshlrev_b32_e32 v160, 4, v90
	global_load_dwordx4 v[130:133], v160, s[4:5] offset:800
	v_fma_f64 v[58:59], v[92:93], v[58:59], -v[60:61]
	v_add_f64 v[92:93], v[96:97], -v[78:79]
	v_mul_lo_u16_e32 v1, 60, v182
	v_accvgpr_write_b32 a17, v179
	s_waitcnt vmcnt(4)
	v_mul_f64 v[60:61], v[124:125], v[76:77]
	v_mul_f64 v[76:77], v[122:123], v[76:77]
	v_fmac_f64_e32 v[60:61], v[122:123], v[74:75]
	v_fma_f64 v[76:77], v[124:125], v[74:75], -v[76:77]
	s_waitcnt vmcnt(3)
	v_mul_f64 v[122:123], v[138:139], v[84:85]
	v_mul_f64 v[74:75], v[136:137], v[84:85]
	v_fmac_f64_e32 v[122:123], v[136:137], v[82:83]
	v_fma_f64 v[124:125], v[138:139], v[82:83], -v[74:75]
	s_waitcnt vmcnt(2)
	v_mul_f64 v[136:137], v[150:151], v[88:89]
	v_mul_f64 v[74:75], v[148:149], v[88:89]
	v_add_f64 v[82:83], v[106:107], -v[80:81]
	v_fmac_f64_e32 v[136:137], v[148:149], v[86:87]
	v_fma_f64 v[138:139], v[150:151], v[86:87], -v[74:75]
	v_fma_f64 v[86:87], v[106:107], 2.0, -v[82:83]
	v_mul_lo_u16_sdwa v106, v158, v157 dst_sel:DWORD dst_unused:UNUSED_PAD src0_sel:WORD_1 src1_sel:DWORD
	v_sub_u16_e32 v106, v235, v106
	v_lshlrev_b32_e32 v162, 4, v106
	v_mul_u32_u24_e32 v106, 0x889, v221
	v_lshrrev_b32_e32 v163, 17, v106
	v_accvgpr_write_b32 a30, v106
	v_mul_lo_u16_e32 v106, 60, v163
	v_add_f64 v[84:85], v[108:109], -v[58:59]
	v_add_f64 v[74:75], v[126:127], -v[60:61]
	;; [unrolled: 1-line block ×4, first 2 shown]
	global_load_dwordx4 v[122:125], v162, s[4:5] offset:800
	v_sub_u16_e32 v106, v221, v106
	v_add_f64 v[76:77], v[128:129], -v[76:77]
	v_lshlrev_b32_e32 v176, 4, v106
	v_fma_f64 v[88:89], v[108:109], 2.0, -v[84:85]
	v_fma_f64 v[78:79], v[126:127], 2.0, -v[74:75]
	;; [unrolled: 1-line block ×3, first 2 shown]
	global_load_dwordx4 v[126:129], v176, s[4:5] offset:800
	v_fma_f64 v[108:109], v[100:101], 2.0, -v[60:61]
	v_add_f64 v[100:101], v[104:105], -v[138:139]
	v_add3_u32 v157, 0, v134, v135
	v_mul_u32_u24_e32 v134, 0x889, v218
	v_mul_u32_u24_e32 v138, 0x889, v219
	v_lshrrev_b32_e32 v177, 17, v134
	v_lshrrev_b32_e32 v179, 17, v138
	v_sub_u16_e32 v1, v175, v1
	v_mov_b32_e32 v193, v220
	v_mov_b32_e32 v185, v167
	v_accvgpr_write_b32 a22, v184
	v_mov_b32_e32 v171, v167
	v_accvgpr_write_b32 a8, v170
	v_accvgpr_write_b32 a32, v134
	v_mul_lo_u16_e32 v134, 60, v177
	v_accvgpr_write_b32 a31, v138
	v_mul_lo_u16_e32 v138, 60, v179
	v_lshlrev_b32_e32 v183, 4, v1
	v_mul_u32_u24_e32 v1, 0x889, v193
	v_accvgpr_write_b32 a23, v185
	v_accvgpr_write_b32 a9, v171
	v_sub_u16_e32 v134, v218, v134
	v_sub_u16_e32 v138, v219, v138
	s_waitcnt vmcnt(3)
	v_mul_f64 v[170:171], v[120:121], v[144:145]
	v_lshrrev_b32_e32 v184, 17, v1
	v_lshlrev_b32_e32 v178, 4, v134
	v_lshlrev_b32_e32 v180, 4, v138
	v_fmac_f64_e32 v[170:171], v[118:119], v[142:143]
	v_mul_f64 v[118:119], v[118:119], v[144:145]
	v_accvgpr_write_b32 a33, v1
	v_mul_lo_u16_e32 v1, 60, v184
	v_add_f64 v[90:91], v[94:95], -v[140:141]
	v_fma_f64 v[106:107], v[98:99], 2.0, -v[58:59]
	v_add_f64 v[98:99], v[102:103], -v[136:137]
	global_load_dwordx4 v[134:137], v178, s[4:5] offset:800
	global_load_dwordx4 v[138:141], v180, s[4:5] offset:800
	v_fma_f64 v[118:119], v[120:121], v[142:143], -v[118:119]
	v_sub_u16_e32 v1, v193, v1
	v_mov_b32_e32 v174, v190
	v_lshlrev_b32_e32 v185, 4, v1
	v_mul_u32_u24_e32 v1, 0x889, v174
	v_accvgpr_write_b32 a35, v1
	s_waitcnt vmcnt(4)
	v_mul_f64 v[186:187], v[116:117], v[132:133]
	v_fmac_f64_e32 v[186:187], v[114:115], v[130:131]
	v_mul_f64 v[114:115], v[114:115], v[132:133]
	v_fma_f64 v[130:131], v[116:117], v[130:131], -v[114:115]
	v_add_f64 v[116:117], v[112:113], -v[118:119]
	v_fma_f64 v[120:121], v[112:113], 2.0, -v[116:117]
	v_add_f64 v[112:113], v[72:73], -v[130:131]
	v_lshrrev_b32_e32 v130, 17, v1
	v_mul_lo_u16_e32 v1, 60, v130
	v_sub_u16_e32 v1, v174, v1
	v_mov_b32_e32 v220, v223
	global_load_dwordx4 v[142:145], v183, s[4:5] offset:800
	global_load_dwordx4 v[148:151], v185, s[4:5] offset:800
	v_lshlrev_b32_e32 v131, 4, v1
	v_mul_u32_u24_e32 v1, 0x889, v220
	v_lshrrev_b32_e32 v132, 17, v1
	v_accvgpr_write_b32 a34, v1
	v_mul_lo_u16_e32 v1, 60, v132
	v_sub_u16_e32 v1, v220, v1
	v_lshlrev_b32_e32 v133, 4, v1
	global_load_dwordx4 v[194:197], v131, s[4:5] offset:800
	global_load_dwordx4 v[198:201], v133, s[4:5] offset:800
	v_perm_b32 v1, v173, v155, s3
	v_pk_mul_lo_u16 v1, v1, s7 op_sel_hi:[1,0]
	v_add_f64 v[114:115], v[110:111], -v[170:171]
	v_and_b32_e32 v170, 0xff80, v1
	v_add3_u32 v170, 0, v170, v0
	v_lshrrev_b32_e32 v0, 16, v1
	v_add3_u32 v160, 0, v0, v160
	s_mov_b32 s6, 0x5040100
	s_waitcnt vmcnt(7) lgkmcnt(13)
	v_mul_f64 v[0:1], v[68:69], v[124:125]
	v_fmac_f64_e32 v[0:1], v[66:67], v[122:123]
	v_mul_f64 v[66:67], v[66:67], v[124:125]
	v_fma_f64 v[66:67], v[68:69], v[122:123], -v[66:67]
	v_fma_f64 v[94:95], v[94:95], 2.0, -v[90:91]
	v_fma_f64 v[96:97], v[96:97], 2.0, -v[92:93]
	;; [unrolled: 1-line block ×3, first 2 shown]
	s_waitcnt vmcnt(6) lgkmcnt(12)
	v_mul_f64 v[122:123], v[64:65], v[128:129]
	v_fmac_f64_e32 v[122:123], v[62:63], v[126:127]
	v_mul_f64 v[62:63], v[62:63], v[128:129]
	v_fma_f64 v[124:125], v[64:65], v[126:127], -v[62:63]
	v_add_f64 v[62:63], v[54:55], -v[0:1]
	v_alignbit_b32 v0, v163, v158, 16
	v_pk_mul_lo_u16 v0, v0, s7 op_sel_hi:[1,0]
	v_add_f64 v[64:65], v[56:57], -v[66:67]
	v_and_b32_e32 v1, 0xff80, v0
	v_lshrrev_b32_e32 v0, 16, v0
	v_fma_f64 v[66:67], v[54:55], 2.0, -v[62:63]
	v_add_f64 v[54:55], v[50:51], -v[122:123]
	v_add3_u32 v126, 0, v1, v162
	v_add3_u32 v127, 0, v0, v176
	v_fma_f64 v[68:69], v[56:57], 2.0, -v[64:65]
	v_add_f64 v[56:57], v[52:53], -v[124:125]
	v_add_f64 v[110:111], v[70:71], -v[186:187]
	v_fma_f64 v[102:103], v[102:103], 2.0, -v[98:99]
	v_fma_f64 v[104:105], v[104:105], 2.0, -v[100:101]
	;; [unrolled: 1-line block ×6, first 2 shown]
	s_waitcnt lgkmcnt(0)
	s_barrier
	v_mul_u32_u24_sdwa v244, v235, s2 dst_sel:DWORD dst_unused:UNUSED_PAD src0_sel:WORD_0 src1_sel:DWORD
	v_mul_u32_u24_sdwa v245, v175, s2 dst_sel:DWORD dst_unused:UNUSED_PAD src0_sel:WORD_0 src1_sel:DWORD
	v_mov_b32_e32 v225, v167
	v_accvgpr_write_b32 a20, v224
	v_accvgpr_write_b32 a21, v225
	v_mov_b32_e32 v168, v238
	v_accvgpr_write_b32 a1, v146
	v_mov_b32_e32 v190, v226
	v_accvgpr_write_b32 a3, v147
	s_waitcnt vmcnt(5)
	v_mul_f64 v[0:1], v[48:49], v[136:137]
	s_waitcnt vmcnt(4)
	v_mul_f64 v[122:123], v[44:45], v[140:141]
	v_fmac_f64_e32 v[0:1], v[46:47], v[134:135]
	v_fmac_f64_e32 v[122:123], v[42:43], v[138:139]
	v_mul_f64 v[42:43], v[42:43], v[140:141]
	v_fma_f64 v[124:125], v[44:45], v[138:139], -v[42:43]
	v_add_f64 v[42:43], v[38:39], -v[0:1]
	v_perm_b32 v0, v179, v177, s6
	v_mul_f64 v[46:47], v[46:47], v[136:137]
	v_pk_mul_lo_u16 v0, v0, s7 op_sel_hi:[1,0]
	v_fma_f64 v[46:47], v[48:49], v[134:135], -v[46:47]
	v_and_b32_e32 v1, 0xff80, v0
	v_lshrrev_b32_e32 v0, 16, v0
	v_add_f64 v[44:45], v[40:41], -v[46:47]
	v_fma_f64 v[46:47], v[38:39], 2.0, -v[42:43]
	v_add_f64 v[38:39], v[34:35], -v[122:123]
	v_add3_u32 v128, 0, v1, v178
	v_add3_u32 v129, 0, v0, v180
	v_fma_f64 v[48:49], v[40:41], 2.0, -v[44:45]
	s_waitcnt vmcnt(3)
	v_mul_f64 v[0:1], v[32:33], v[144:145]
	s_waitcnt vmcnt(2)
	v_mul_f64 v[122:123], v[28:29], v[150:151]
	v_fmac_f64_e32 v[0:1], v[30:31], v[142:143]
	v_fmac_f64_e32 v[122:123], v[26:27], v[148:149]
	v_mul_f64 v[26:27], v[26:27], v[150:151]
	v_add_f64 v[40:41], v[36:37], -v[124:125]
	v_fma_f64 v[124:125], v[28:29], v[148:149], -v[26:27]
	v_add_f64 v[26:27], v[22:23], -v[0:1]
	v_perm_b32 v0, v184, v182, s6
	v_mul_f64 v[30:31], v[30:31], v[144:145]
	v_pk_mul_lo_u16 v0, v0, s7 op_sel_hi:[1,0]
	v_fma_f64 v[30:31], v[32:33], v[142:143], -v[30:31]
	v_and_b32_e32 v1, 0xff80, v0
	v_lshrrev_b32_e32 v0, 16, v0
	v_add_f64 v[28:29], v[24:25], -v[30:31]
	v_fma_f64 v[30:31], v[22:23], 2.0, -v[26:27]
	v_add_f64 v[22:23], v[18:19], -v[122:123]
	v_add3_u32 v134, 0, v1, v183
	v_add3_u32 v135, 0, v0, v185
	s_waitcnt vmcnt(1)
	v_mul_f64 v[0:1], v[16:17], v[196:197]
	s_waitcnt vmcnt(0)
	v_mul_f64 v[122:123], v[12:13], v[200:201]
	v_fmac_f64_e32 v[0:1], v[14:15], v[194:195]
	v_mul_f64 v[14:15], v[14:15], v[196:197]
	v_fmac_f64_e32 v[122:123], v[10:11], v[198:199]
	v_mul_f64 v[10:11], v[10:11], v[200:201]
	v_fma_f64 v[32:33], v[24:25], 2.0, -v[28:29]
	v_add_f64 v[24:25], v[20:21], -v[124:125]
	v_fma_f64 v[14:15], v[16:17], v[194:195], -v[14:15]
	v_fma_f64 v[124:125], v[12:13], v[198:199], -v[10:11]
	v_add_f64 v[10:11], v[6:7], -v[0:1]
	v_perm_b32 v0, v132, v130, s6
	v_add_f64 v[12:13], v[8:9], -v[14:15]
	v_pk_mul_lo_u16 v0, v0, s7 op_sel_hi:[1,0]
	v_fma_f64 v[14:15], v[6:7], 2.0, -v[10:11]
	v_fma_f64 v[16:17], v[8:9], 2.0, -v[12:13]
	v_add_f64 v[6:7], v[2:3], -v[122:123]
	v_add_f64 v[8:9], v[4:5], -v[124:125]
	v_and_b32_e32 v1, 0xff80, v0
	v_lshrrev_b32_e32 v0, 16, v0
	v_fma_f64 v[2:3], v[2:3], 2.0, -v[6:7]
	v_fma_f64 v[4:5], v[4:5], 2.0, -v[8:9]
	v_add3_u32 v1, 0, v1, v131
	v_add3_u32 v0, 0, v0, v133
	s_movk_i32 s7, 0x78
	v_fma_f64 v[34:35], v[34:35], 2.0, -v[38:39]
	v_fma_f64 v[36:37], v[36:37], 2.0, -v[40:41]
	;; [unrolled: 1-line block ×4, first 2 shown]
	ds_write_b128 v157, v[94:97]
	ds_write_b128 v157, v[90:93] offset:960
	ds_write_b128 v181, v[86:89]
	ds_write_b128 v181, v[82:85] offset:960
	;; [unrolled: 2-line block ×15, first 2 shown]
	v_add_u32_e32 v0, 0xffffff88, v164
	v_cmp_gt_u32_e32 vcc, s7, v164
	v_mul_u32_u24_e32 v127, 0x223, v222
	v_mul_u32_u24_e32 v134, 0x223, v192
	v_cndmask_b32_e32 v122, v0, v164, vcc
	v_lshrrev_b16_e32 v0, 14, v154
	v_mul_lo_u16_e32 v1, 0x78, v0
	v_sub_u16_e32 v1, v237, v1
	v_lshlrev_b32_sdwa v125, v153, v1 dst_sel:DWORD dst_unused:UNUSED_PAD src0_sel:DWORD src1_sel:BYTE_0
	v_mul_lo_u16_sdwa v1, v127, s7 dst_sel:DWORD dst_unused:UNUSED_PAD src0_sel:WORD_1 src1_sel:DWORD
	v_sub_u16_e32 v1, v222, v1
	v_lshlrev_b32_e32 v126, 4, v1
	v_mul_lo_u16_sdwa v1, v134, s7 dst_sel:DWORD dst_unused:UNUSED_PAD src0_sel:WORD_1 src1_sel:DWORD
	v_sub_u16_e32 v1, v192, v1
	v_lshrrev_b32_e32 v130, 17, v172
	v_lshlrev_b32_e32 v128, 4, v1
	v_mul_lo_u16_e32 v1, 0x78, v130
	v_sub_u16_e32 v1, v232, v1
	v_lshlrev_b32_e32 v131, 4, v1
	v_lshrrev_b32_e32 v1, 17, v155
	v_mul_lo_u16_e32 v1, 0x78, v1
	v_sub_u16_e32 v1, v152, v1
	v_lshlrev_b32_e32 v133, 4, v1
	v_mul_u32_u24_sdwa v1, v169, s2 dst_sel:DWORD dst_unused:UNUSED_PAD src0_sel:WORD_0 src1_sel:DWORD
	v_lshrrev_b32_e32 v135, 22, v1
	v_mul_lo_u16_e32 v1, 0x78, v135
	v_sub_u16_e32 v1, v169, v1
	v_lshrrev_b32_e32 v129, 22, v244
	v_lshlrev_b32_e32 v137, 4, v1
	v_mul_lo_u16_e32 v1, 0x78, v129
	v_sub_u16_e32 v1, v235, v1
	v_lshlrev_b32_e32 v132, 4, v1
	v_mul_u32_u24_sdwa v1, v221, s2 dst_sel:DWORD dst_unused:UNUSED_PAD src0_sel:WORD_0 src1_sel:DWORD
	v_lshrrev_b32_e32 v136, 22, v1
	v_mul_lo_u16_e32 v1, 0x78, v136
	v_mul_u32_u24_sdwa v150, v218, s2 dst_sel:DWORD dst_unused:UNUSED_PAD src0_sel:WORD_0 src1_sel:DWORD
	v_sub_u16_e32 v1, v221, v1
	v_lshrrev_b32_e32 v139, 22, v150
	v_lshlrev_b32_e32 v138, 4, v1
	v_mul_lo_u16_e32 v1, 0x78, v139
	v_sub_u16_e32 v1, v218, v1
	v_lshlrev_b32_e32 v140, 4, v1
	v_mul_u32_u24_sdwa v1, v219, s2 dst_sel:DWORD dst_unused:UNUSED_PAD src0_sel:WORD_0 src1_sel:DWORD
	v_lshrrev_b32_e32 v141, 22, v1
	v_mov_b32_e32 v123, v167
	v_mul_lo_u16_e32 v1, 0x78, v141
	v_lshl_add_u64 v[26:27], v[122:123], 4, s[4:5]
	v_sub_u16_e32 v1, v219, v1
	v_lshrrev_b32_e32 v143, 22, v245
	s_waitcnt lgkmcnt(0)
	s_barrier
	ds_read_b128 v[14:17], v165
	ds_read_b128 v[6:9], v165 offset:2048
	ds_read_b128 v[22:25], v165 offset:32768
	;; [unrolled: 1-line block ×3, first 2 shown]
	ds_read_b128 v[10:13], v233
	ds_read_b128 v[2:5], v188
	global_load_dwordx4 v[26:29], v[26:27], off offset:1760
	s_nop 0
	global_load_dwordx4 v[30:33], v125, s[4:5] offset:1760
	global_load_dwordx4 v[38:41], v126, s[4:5] offset:1760
	;; [unrolled: 1-line block ×3, first 2 shown]
	v_lshlrev_b32_e32 v142, 4, v1
	v_mul_lo_u16_e32 v1, 0x78, v143
	global_load_dwordx4 v[46:49], v131, s[4:5] offset:1760
	global_load_dwordx4 v[42:45], v133, s[4:5] offset:1760
	v_sub_u16_e32 v1, v175, v1
	v_lshlrev_b32_e32 v144, 4, v1
	v_mul_u32_u24_sdwa v1, v193, s2 dst_sel:DWORD dst_unused:UNUSED_PAD src0_sel:WORD_0 src1_sel:DWORD
	global_load_dwordx4 v[54:57], v137, s[4:5] offset:1760
	global_load_dwordx4 v[50:53], v132, s[4:5] offset:1760
	v_lshrrev_b32_e32 v145, 22, v1
	v_mul_lo_u16_e32 v1, 0x78, v145
	v_mul_u32_u24_sdwa v124, v174, s2 dst_sel:DWORD dst_unused:UNUSED_PAD src0_sel:WORD_0 src1_sel:DWORD
	global_load_dwordx4 v[62:65], v138, s[4:5] offset:1760
	global_load_dwordx4 v[58:61], v140, s[4:5] offset:1760
	v_sub_u16_e32 v1, v193, v1
	v_lshrrev_b32_e32 v153, 22, v124
	v_lshlrev_b32_e32 v151, 4, v1
	v_mul_lo_u16_e32 v1, 0x78, v153
	v_sub_u16_e32 v1, v174, v1
	v_lshlrev_b32_e32 v154, 4, v1
	v_mul_u32_u24_sdwa v1, v220, s2 dst_sel:DWORD dst_unused:UNUSED_PAD src0_sel:WORD_0 src1_sel:DWORD
	global_load_dwordx4 v[66:69], v142, s[4:5] offset:1760
	global_load_dwordx4 v[70:73], v144, s[4:5] offset:1760
	v_lshrrev_b32_e32 v155, 22, v1
	v_mul_lo_u16_e32 v1, 0x78, v155
	v_sub_u16_e32 v1, v220, v1
	global_load_dwordx4 v[74:77], v151, s[4:5] offset:1760
	global_load_dwordx4 v[78:81], v154, s[4:5] offset:1760
	v_lshlrev_b32_e32 v156, 4, v1
	global_load_dwordx4 v[82:85], v156, s[4:5] offset:1760
	ds_read_b128 v[86:89], v165 offset:30720
	ds_read_b128 v[194:197], v165 offset:8192
	;; [unrolled: 1-line block ×4, first 2 shown]
	ds_read_b128 v[198:201], v236
	ds_read_b128 v[202:205], v146
	ds_read_b128 v[98:101], v165 offset:40960
	ds_read_b128 v[102:105], v165 offset:43008
	ds_read_b128 v[206:209], v191
	ds_read_b128 v[210:213], v226
	ds_read_b128 v[106:109], v165 offset:45056
	ds_read_b128 v[110:113], v165 offset:47104
	v_mov_b32_e32 v1, 0xf00
	v_cmp_lt_u32_e32 vcc, s9, v164
	v_lshlrev_b32_e32 v122, 4, v122
	v_mul_u32_u24_e32 v0, 0xf00, v0
	v_cndmask_b32_e32 v1, 0, v1, vcc
	ds_read_b128 v[214:217], v227
	ds_read_b128 v[246:249], v147
	v_add3_u32 v1, 0, v1, v122
	v_add3_u32 v0, 0, v0, v125
	s_movk_i32 s7, 0xf00
	v_mov_b32_e32 v157, v188
	v_mov_b32_e32 v123, v227
	;; [unrolled: 1-line block ×4, first 2 shown]
	s_waitcnt vmcnt(14) lgkmcnt(13)
	v_mul_f64 v[114:115], v[88:89], v[28:29]
	s_waitcnt vmcnt(12)
	v_mul_f64 v[186:187], v[20:21], v[40:41]
	v_fmac_f64_e32 v[186:187], v[18:19], v[38:39]
	v_mul_f64 v[18:19], v[18:19], v[40:41]
	v_mul_f64 v[148:149], v[24:25], v[32:33]
	v_fma_f64 v[254:255], v[20:21], v[38:39], -v[18:19]
	s_waitcnt vmcnt(9) lgkmcnt(7)
	v_mul_f64 v[38:39], v[98:99], v[44:45]
	v_mul_f64 v[28:29], v[86:87], v[28:29]
	v_fmac_f64_e32 v[148:149], v[22:23], v[30:31]
	v_mul_f64 v[22:23], v[22:23], v[32:33]
	v_fma_f64 v[176:177], v[100:101], v[42:43], -v[38:39]
	s_waitcnt vmcnt(8) lgkmcnt(6)
	v_mul_f64 v[178:179], v[104:105], v[56:57]
	v_mul_f64 v[38:39], v[102:103], v[56:57]
	v_fmac_f64_e32 v[114:115], v[86:87], v[26:27]
	v_fma_f64 v[116:117], v[88:89], v[26:27], -v[28:29]
	v_fma_f64 v[170:171], v[24:25], v[30:31], -v[22:23]
	v_mul_f64 v[30:31], v[90:91], v[36:37]
	v_fmac_f64_e32 v[178:179], v[102:103], v[54:55]
	v_fma_f64 v[54:55], v[104:105], v[54:55], -v[38:39]
	s_waitcnt vmcnt(7) lgkmcnt(3)
	v_mul_f64 v[56:57], v[108:109], v[52:53]
	v_mul_f64 v[38:39], v[106:107], v[52:53]
	v_mul_f64 v[162:163], v[92:93], v[36:37]
	v_fma_f64 v[92:93], v[92:93], v[34:35], -v[30:31]
	v_mul_f64 v[224:225], v[96:97], v[48:49]
	v_mul_f64 v[30:31], v[94:95], v[48:49]
	v_fmac_f64_e32 v[56:57], v[106:107], v[50:51]
	v_fma_f64 v[50:51], v[108:109], v[50:51], -v[38:39]
	s_waitcnt vmcnt(6) lgkmcnt(2)
	v_mul_f64 v[52:53], v[112:113], v[64:65]
	v_mul_f64 v[38:39], v[110:111], v[64:65]
	v_add_f64 v[114:115], v[14:15], -v[114:115]
	v_add_f64 v[116:117], v[16:17], -v[116:117]
	;; [unrolled: 1-line block ×4, first 2 shown]
	ds_read_b128 v[26:29], v165 offset:49152
	ds_read_b128 v[86:89], v165 offset:51200
	ds_read_b128 v[18:21], v228
	ds_read_b128 v[22:25], v229
	v_fmac_f64_e32 v[162:163], v[90:91], v[34:35]
	v_fmac_f64_e32 v[224:225], v[94:95], v[46:47]
	v_fma_f64 v[46:47], v[96:97], v[46:47], -v[30:31]
	ds_read_b128 v[30:33], v165 offset:53248
	ds_read_b128 v[34:37], v165 offset:55296
	v_mul_f64 v[48:49], v[100:101], v[44:45]
	v_fmac_f64_e32 v[52:53], v[110:111], v[62:63]
	v_fma_f64 v[180:181], v[112:113], v[62:63], -v[38:39]
	v_fma_f64 v[118:119], v[14:15], 2.0, -v[114:115]
	v_fma_f64 v[120:121], v[16:17], 2.0, -v[116:117]
	;; [unrolled: 1-line block ×4, first 2 shown]
	v_fmac_f64_e32 v[48:49], v[98:99], v[42:43]
	ds_read_b128 v[250:253], v238
	ds_read_b128 v[158:161], v243
	ds_read_b128 v[38:41], v165 offset:57344
	ds_read_b128 v[42:45], v165 offset:59392
	s_waitcnt lgkmcnt(0)
	s_barrier
	ds_write_b128 v1, v[118:121]
	ds_write_b128 v1, v[114:117] offset:1920
	ds_write_b128 v0, v[110:113]
	ds_write_b128 v0, v[106:109] offset:1920
	v_perm_b32 v0, v134, v127, s3
	v_pk_mul_lo_u16 v0, v0, s7 op_sel_hi:[1,0]
	v_add_f64 v[98:99], v[10:11], -v[186:187]
	v_add_f64 v[100:101], v[12:13], -v[254:255]
	v_add_f64 v[90:91], v[2:3], -v[162:163]
	v_add_f64 v[92:93], v[4:5], -v[92:93]
	v_and_b32_e32 v1, 0xff00, v0
	v_lshrrev_b32_e32 v0, 16, v0
	s_waitcnt vmcnt(3)
	v_mul_f64 v[238:239], v[32:33], v[72:73]
	v_fma_f64 v[102:103], v[10:11], 2.0, -v[98:99]
	v_fma_f64 v[104:105], v[12:13], 2.0, -v[100:101]
	;; [unrolled: 1-line block ×4, first 2 shown]
	v_add3_u32 v1, 0, v1, v126
	v_add3_u32 v0, 0, v0, v128
	v_fmac_f64_e32 v[238:239], v[30:31], v[70:71]
	v_mul_f64 v[30:31], v[30:31], v[72:73]
	ds_write_b128 v1, v[102:105]
	ds_write_b128 v1, v[98:101] offset:1920
	ds_write_b128 v0, v[94:97]
	ds_write_b128 v0, v[90:93] offset:1920
	v_mul_u32_u24_e32 v0, 0x8889, v152
	v_fma_f64 v[30:31], v[32:33], v[70:71], -v[30:31]
	s_waitcnt vmcnt(2)
	v_mul_f64 v[32:33], v[34:35], v[76:77]
	v_lshrrev_b32_e32 v0, 22, v0
	v_mul_f64 v[182:183], v[28:29], v[60:61]
	v_fma_f64 v[240:241], v[36:37], v[74:75], -v[32:33]
	s_waitcnt vmcnt(1)
	v_mul_f64 v[32:33], v[38:39], v[80:81]
	v_perm_b32 v0, v0, v130, s6
	v_fmac_f64_e32 v[182:183], v[26:27], v[58:59]
	v_mul_f64 v[26:27], v[26:27], v[60:61]
	v_mul_f64 v[184:185], v[36:37], v[76:77]
	v_fma_f64 v[242:243], v[40:41], v[78:79], -v[32:33]
	s_waitcnt vmcnt(0)
	v_mul_f64 v[188:189], v[44:45], v[84:85]
	v_mul_f64 v[32:33], v[42:43], v[84:85]
	v_pk_mul_lo_u16 v0, v0, s7 op_sel_hi:[1,0]
	v_fma_f64 v[26:27], v[28:29], v[58:59], -v[26:27]
	v_mul_f64 v[28:29], v[88:89], v[68:69]
	v_mul_f64 v[58:59], v[86:87], v[68:69]
	v_fmac_f64_e32 v[184:185], v[34:35], v[74:75]
	v_mul_f64 v[226:227], v[40:41], v[80:81]
	v_fmac_f64_e32 v[188:189], v[42:43], v[82:83]
	v_fma_f64 v[228:229], v[44:45], v[82:83], -v[32:33]
	v_add_f64 v[82:83], v[194:195], -v[224:225]
	v_add_f64 v[84:85], v[196:197], -v[46:47]
	;; [unrolled: 1-line block ×4, first 2 shown]
	v_and_b32_e32 v1, 0xff00, v0
	v_lshrrev_b32_e32 v0, 16, v0
	v_fmac_f64_e32 v[28:29], v[86:87], v[66:67]
	v_fma_f64 v[222:223], v[88:89], v[66:67], -v[58:59]
	v_fmac_f64_e32 v[226:227], v[38:39], v[78:79]
	v_fma_f64 v[86:87], v[194:195], 2.0, -v[82:83]
	v_fma_f64 v[88:89], v[196:197], 2.0, -v[84:85]
	;; [unrolled: 1-line block ×4, first 2 shown]
	v_add3_u32 v1, 0, v1, v131
	v_add3_u32 v0, 0, v0, v133
	v_add_f64 v[66:67], v[202:203], -v[178:179]
	v_add_f64 v[68:69], v[204:205], -v[54:55]
	ds_write_b128 v1, v[86:89]
	ds_write_b128 v1, v[82:85] offset:1920
	ds_write_b128 v0, v[78:81]
	ds_write_b128 v0, v[74:77] offset:1920
	v_mul_u32_u24_e32 v0, 0xf00, v135
	v_fma_f64 v[70:71], v[202:203], 2.0, -v[66:67]
	v_fma_f64 v[72:73], v[204:205], 2.0, -v[68:69]
	v_add3_u32 v0, 0, v0, v137
	v_add_f64 v[58:59], v[206:207], -v[56:57]
	v_add_f64 v[60:61], v[208:209], -v[50:51]
	ds_write_b128 v0, v[70:73]
	ds_write_b128 v0, v[66:69] offset:1920
	v_mul_u32_u24_e32 v0, 0xf00, v129
	v_fma_f64 v[62:63], v[206:207], 2.0, -v[58:59]
	v_fma_f64 v[64:65], v[208:209], 2.0, -v[60:61]
	v_add3_u32 v0, 0, v0, v132
	v_add_f64 v[50:51], v[210:211], -v[52:53]
	v_add_f64 v[52:53], v[212:213], -v[180:181]
	;; [unrolled: 8-line block ×8, first 2 shown]
	ds_write_b128 v0, v[14:17]
	ds_write_b128 v0, v[10:13] offset:1920
	v_mul_u32_u24_e32 v0, 0xf00, v155
	v_fma_f64 v[6:7], v[158:159], 2.0, -v[2:3]
	v_fma_f64 v[8:9], v[160:161], 2.0, -v[4:5]
	v_add3_u32 v0, 0, v0, v156
	s_movk_i32 s3, 0xf0
	ds_write_b128 v0, v[6:9]
	ds_write_b128 v0, v[2:5] offset:1920
	v_add_u32_e32 v0, 0xffffff90, v164
	v_cmp_gt_u32_e32 vcc, s3, v237
	v_mov_b32_e32 v199, v167
	v_lshrrev_b32_e32 v187, 23, v234
	v_cndmask_b32_e32 v198, v0, v237, vcc
	v_lshl_add_u64 v[0:1], v[198:199], 4, s[4:5]
	v_mul_lo_u16_e32 v50, 0xf0, v187
	s_waitcnt lgkmcnt(0)
	s_barrier
	ds_read_b128 v[18:21], v165
	ds_read_b128 v[10:13], v165 offset:2048
	ds_read_b128 v[34:37], v165 offset:32768
	ds_read_b128 v[26:29], v165 offset:34816
	ds_read_b128 v[14:17], v233
	ds_read_b128 v[6:9], v157
	ds_read_b128 v[38:41], v165 offset:30720
	ds_read_b128 v[2:5], v165 offset:8192
	;; [unrolled: 1-line block ×4, first 2 shown]
	global_load_dwordx4 v[54:57], v[0:1], off offset:3680
	v_sub_u16_e32 v0, v192, v50
	v_lshlrev_b32_e32 v222, 4, v0
	v_lshrrev_b32_e32 v0, 18, v172
	v_lshrrev_b32_e32 v253, 23, v244
	v_accvgpr_read_b32 v162, a4
	v_mul_lo_u16_e32 v0, 0xf0, v0
	v_mul_lo_u16_e32 v1, 0xf0, v253
	global_load_dwordx4 v[42:45], v162, s[4:5] offset:3680
	global_load_dwordx4 v[46:49], v166, s[4:5] offset:3936
	v_sub_u16_e32 v0, v232, v0
	v_sub_u16_e32 v1, v235, v1
	v_accvgpr_read_b32 v172, a30
	v_lshlrev_b32_e32 v186, 4, v0
	v_mul_u32_u24_sdwa v0, v152, s2 dst_sel:DWORD dst_unused:UNUSED_PAD src0_sel:WORD_0 src1_sel:DWORD
	v_lshlrev_b32_e32 v255, 4, v1
	v_lshrrev_b32_e32 v1, 19, v172
	v_lshrrev_b32_e32 v232, 23, v0
	v_mul_lo_u16_e32 v1, 0xf0, v1
	v_mul_lo_u16_e32 v0, 0xf0, v232
	v_sub_u16_e32 v1, v221, v1
	v_lshrrev_b32_e32 v250, 23, v150
	v_sub_u16_e32 v0, v152, v0
	v_lshlrev_b32_e32 v254, 4, v1
	v_mul_lo_u16_e32 v1, 0xf0, v250
	v_lshlrev_b32_e32 v234, 4, v0
	v_lshrrev_b32_e32 v0, 18, v173
	v_sub_u16_e32 v1, v218, v1
	v_accvgpr_read_b32 v173, a31
	global_load_dwordx4 v[50:53], v222, s[4:5] offset:3680
	v_lshlrev_b32_e32 v252, 4, v1
	v_lshrrev_b32_e32 v1, 19, v173
	v_mul_lo_u16_e32 v0, 0xf0, v0
	v_mul_lo_u16_e32 v1, 0xf0, v1
	v_accvgpr_read_b32 v183, a33
	v_sub_u16_e32 v0, v169, v0
	v_sub_u16_e32 v1, v219, v1
	v_lshrrev_b32_e32 v90, 19, v183
	global_load_dwordx4 v[62:65], v186, s[4:5] offset:3680
	global_load_dwordx4 v[58:61], v234, s[4:5] offset:3680
	v_lshlrev_b32_e32 v0, 4, v0
	v_lshlrev_b32_e32 v251, 4, v1
	v_lshrrev_b32_e32 v1, 23, v245
	v_mul_lo_u16_e32 v90, 0xf0, v90
	global_load_dwordx4 v[70:73], v0, s[4:5] offset:3680
	global_load_dwordx4 v[66:69], v255, s[4:5] offset:3680
	;; [unrolled: 1-line block ×4, first 2 shown]
	v_mul_lo_u16_e32 v82, 0xf0, v1
	v_sub_u16_e32 v90, v193, v90
	v_accvgpr_read_b32 v184, a34
	v_sub_u16_e32 v82, v175, v82
	v_lshlrev_b32_e32 v170, 4, v90
	v_lshrrev_b32_e32 v98, 19, v184
	v_lshlrev_b32_e32 v171, 4, v82
	global_load_dwordx4 v[86:89], v251, s[4:5] offset:3680
	global_load_dwordx4 v[82:85], v171, s[4:5] offset:3680
	;; [unrolled: 1-line block ×3, first 2 shown]
	v_mul_lo_u16_e32 v98, 0xf0, v98
	v_lshrrev_b32_e32 v199, 23, v124
	v_sub_u16_e32 v98, v220, v98
	v_mul_lo_u16_e32 v90, 0xf0, v199
	v_lshlrev_b32_e32 v226, 4, v98
	v_sub_u16_e32 v90, v174, v90
	global_load_dwordx4 v[98:101], v226, s[4:5] offset:3680
	v_lshlrev_b32_e32 v169, 4, v90
	global_load_dwordx4 v[90:93], v169, s[4:5] offset:3680
	v_accvgpr_read_b32 v180, a1
	v_mov_b32_e32 v182, v157
	ds_read_b128 v[154:157], v236
	ds_read_b128 v[150:153], v180
	ds_read_b128 v[106:109], v165 offset:40960
	ds_read_b128 v[118:121], v165 offset:43008
	ds_read_b128 v[142:145], v191
	ds_read_b128 v[130:133], v190
	ds_read_b128 v[138:141], v165 offset:45056
	ds_read_b128 v[158:161], v165 offset:47104
	ds_read_b128 v[126:129], v123
	v_accvgpr_read_b32 v228, a3
	v_mov_b32_e32 v223, v123
	ds_read_b128 v[122:125], v228
	ds_read_b128 v[200:203], v165 offset:49152
	ds_read_b128 v[204:207], v165 offset:51200
	ds_read_b128 v[114:117], v146
	ds_read_b128 v[110:113], v147
	ds_read_b128 v[212:215], v165 offset:53248
	ds_read_b128 v[246:249], v165 offset:55296
	v_accvgpr_read_b32 v227, a5
	v_mov_b32_e32 v224, v146
	v_mov_b32_e32 v225, v147
	ds_read_b128 v[146:149], v168
	ds_read_b128 v[134:137], v227
	v_mov_b32_e32 v163, v167
	s_movk_i32 s2, 0xef
	v_lshl_add_u64 v[196:197], s[4:5], 0, v[162:163]
	v_cmp_lt_u32_e32 vcc, s2, v237
	v_add_u32_e32 v0, 0, v0
	s_movk_i32 s2, 0x1000
	v_lshl_add_u64 v[194:195], s[4:5], 0, v[166:167]
	s_movk_i32 s3, 0x2000
	v_mov_b32_e32 v178, v191
	s_waitcnt vmcnt(13) lgkmcnt(14)
	v_mul_f64 v[102:103], v[40:41], v[44:45]
	v_fmac_f64_e32 v[102:103], v[38:39], v[42:43]
	v_mul_f64 v[38:39], v[38:39], v[44:45]
	v_fma_f64 v[104:105], v[40:41], v[42:43], -v[38:39]
	v_mul_f64 v[38:39], v[36:37], v[56:57]
	v_fmac_f64_e32 v[38:39], v[34:35], v[54:55]
	v_mul_f64 v[34:35], v[34:35], v[56:57]
	v_fma_f64 v[36:37], v[36:37], v[54:55], -v[34:35]
	s_waitcnt vmcnt(12)
	v_mul_f64 v[34:35], v[28:29], v[48:49]
	v_fmac_f64_e32 v[34:35], v[26:27], v[46:47]
	v_mul_f64 v[26:27], v[26:27], v[48:49]
	v_fma_f64 v[26:27], v[28:29], v[46:47], -v[26:27]
	v_mov_b32_e32 v179, v190
	v_mov_b32_e32 v181, v168
	v_mov_b32_e32 v190, v192
	v_mov_b32_e32 v191, v182
	s_waitcnt vmcnt(11)
	v_mul_f64 v[28:29], v[32:33], v[52:53]
	v_fmac_f64_e32 v[28:29], v[30:31], v[50:51]
	v_mul_f64 v[30:31], v[30:31], v[52:53]
	v_fma_f64 v[32:33], v[32:33], v[50:51], -v[30:31]
	s_waitcnt vmcnt(10)
	v_mul_f64 v[30:31], v[24:25], v[64:65]
	v_fmac_f64_e32 v[30:31], v[22:23], v[62:63]
	v_mul_f64 v[22:23], v[22:23], v[64:65]
	v_fma_f64 v[22:23], v[24:25], v[62:63], -v[22:23]
	ds_read_b128 v[62:65], v165 offset:57344
	ds_read_b128 v[48:51], v165 offset:59392
	s_waitcnt vmcnt(9)
	v_mul_f64 v[24:25], v[108:109], v[60:61]
	s_waitcnt vmcnt(6) lgkmcnt(12)
	v_mul_f64 v[46:47], v[158:159], v[80:81]
	v_fma_f64 v[54:55], v[160:161], v[78:79], -v[46:47]
	s_waitcnt vmcnt(5) lgkmcnt(9)
	v_mul_f64 v[46:47], v[202:203], v[76:77]
	v_mul_f64 v[40:41], v[106:107], v[60:61]
	;; [unrolled: 1-line block ×3, first 2 shown]
	v_fmac_f64_e32 v[46:47], v[200:201], v[74:75]
	v_mul_f64 v[60:61], v[200:201], v[76:77]
	v_fmac_f64_e32 v[24:25], v[106:107], v[58:59]
	s_waitcnt vmcnt(4) lgkmcnt(8)
	v_mul_f64 v[200:201], v[206:207], v[88:89]
	v_fma_f64 v[56:57], v[108:109], v[58:59], -v[40:41]
	v_fma_f64 v[58:59], v[120:121], v[70:71], -v[42:43]
	v_mul_f64 v[42:43], v[140:141], v[68:69]
	v_mul_f64 v[44:45], v[138:139], v[68:69]
	v_fma_f64 v[208:209], v[202:203], v[74:75], -v[60:61]
	v_fmac_f64_e32 v[200:201], v[204:205], v[86:87]
	v_mul_f64 v[60:61], v[204:205], v[88:89]
	s_waitcnt vmcnt(2) lgkmcnt(4)
	v_mul_f64 v[204:205], v[248:249], v[96:97]
	v_fmac_f64_e32 v[42:43], v[138:139], v[66:67]
	v_fma_f64 v[52:53], v[140:141], v[66:67], -v[44:45]
	v_mul_f64 v[44:45], v[160:161], v[80:81]
	v_fmac_f64_e32 v[204:205], v[246:247], v[94:95]
	v_add_f64 v[138:139], v[18:19], -v[102:103]
	v_fmac_f64_e32 v[44:45], v[158:159], v[78:79]
	v_fma_f64 v[158:159], v[18:19], 2.0, -v[138:139]
	v_add_f64 v[18:19], v[110:111], -v[204:205]
	v_fma_f64 v[210:211], v[206:207], v[86:87], -v[60:61]
	v_mul_f64 v[202:203], v[214:215], v[84:85]
	v_mul_f64 v[60:61], v[212:213], v[84:85]
	s_waitcnt vmcnt(1) lgkmcnt(0)
	v_mul_f64 v[162:163], v[50:51], v[100:101]
	v_add_f64 v[84:85], v[4:5], -v[22:23]
	v_fma_f64 v[22:23], v[110:111], 2.0, -v[18:19]
	v_mov_b32_e32 v110, 0x1e00
	v_mul_f64 v[40:41], v[120:121], v[72:73]
	v_fmac_f64_e32 v[202:203], v[212:213], v[82:83]
	v_fma_f64 v[212:213], v[214:215], v[82:83], -v[60:61]
	v_mul_f64 v[60:61], v[246:247], v[96:97]
	v_fmac_f64_e32 v[162:163], v[48:49], v[98:99]
	v_mul_f64 v[48:49], v[48:49], v[100:101]
	v_add_f64 v[140:141], v[20:21], -v[104:105]
	v_add_f64 v[106:107], v[10:11], -v[38:39]
	;; [unrolled: 1-line block ×3, first 2 shown]
	v_cndmask_b32_e32 v110, 0, v110, vcc
	v_lshlrev_b32_e32 v111, 4, v198
	v_fmac_f64_e32 v[40:41], v[118:119], v[70:71]
	v_fma_f64 v[214:215], v[248:249], v[94:95], -v[60:61]
	s_waitcnt vmcnt(0)
	v_mul_f64 v[206:207], v[64:65], v[92:93]
	v_mul_f64 v[60:61], v[62:63], v[92:93]
	v_fma_f64 v[176:177], v[50:51], v[98:99], -v[48:49]
	v_fma_f64 v[160:161], v[20:21], 2.0, -v[140:141]
	v_fma_f64 v[118:119], v[10:11], 2.0, -v[106:107]
	;; [unrolled: 1-line block ×3, first 2 shown]
	v_add_f64 v[98:99], v[14:15], -v[34:35]
	v_add_f64 v[100:101], v[16:17], -v[26:27]
	v_add3_u32 v110, 0, v110, v111
	v_fmac_f64_e32 v[206:207], v[62:63], v[90:91]
	v_fma_f64 v[216:217], v[64:65], v[90:91], -v[60:61]
	v_fma_f64 v[102:103], v[14:15], 2.0, -v[98:99]
	v_fma_f64 v[104:105], v[16:17], 2.0, -v[100:101]
	v_add_f64 v[90:91], v[6:7], -v[28:29]
	v_add_f64 v[92:93], v[8:9], -v[32:33]
	s_barrier
	ds_write_b128 v165, v[158:161]
	ds_write_b128 v165, v[138:141] offset:3840
	ds_write_b128 v110, v[118:121]
	ds_write_b128 v110, v[106:109] offset:3840
	ds_write_b128 v165, v[102:105] offset:7936
	;; [unrolled: 1-line block ×3, first 2 shown]
	v_mul_u32_u24_e32 v98, 0x1e00, v187
	v_fma_f64 v[94:95], v[6:7], 2.0, -v[90:91]
	v_fma_f64 v[96:97], v[8:9], 2.0, -v[92:93]
	v_add_f64 v[82:83], v[2:3], -v[30:31]
	v_add3_u32 v98, 0, v98, v222
	v_fma_f64 v[86:87], v[2:3], 2.0, -v[82:83]
	v_fma_f64 v[88:89], v[4:5], 2.0, -v[84:85]
	ds_write_b128 v98, v[94:97]
	ds_write_b128 v98, v[90:93] offset:3840
	v_add_u32_e32 v90, 0, v186
	v_add_f64 v[74:75], v[154:155], -v[24:25]
	v_add_f64 v[76:77], v[156:157], -v[56:57]
	;; [unrolled: 1-line block ×4, first 2 shown]
	ds_write_b128 v90, v[86:89] offset:15360
	ds_write_b128 v90, v[82:85] offset:19200
	v_mul_u32_u24_e32 v82, 0x1e00, v232
	v_fma_f64 v[78:79], v[154:155], 2.0, -v[74:75]
	v_fma_f64 v[80:81], v[156:157], 2.0, -v[76:77]
	;; [unrolled: 1-line block ×4, first 2 shown]
	v_add3_u32 v82, 0, v82, v234
	v_add_f64 v[58:59], v[142:143], -v[42:43]
	v_add_f64 v[60:61], v[144:145], -v[52:53]
	ds_write_b128 v82, v[78:81]
	ds_write_b128 v82, v[74:77] offset:3840
	ds_write_b128 v0, v[70:73] offset:23040
	;; [unrolled: 1-line block ×3, first 2 shown]
	v_mul_u32_u24_e32 v0, 0x1e00, v253
	v_fma_f64 v[62:63], v[142:143], 2.0, -v[58:59]
	v_fma_f64 v[64:65], v[144:145], 2.0, -v[60:61]
	v_add_f64 v[50:51], v[130:131], -v[44:45]
	v_add_f64 v[52:53], v[132:133], -v[54:55]
	v_add3_u32 v0, 0, v0, v255
	v_fma_f64 v[54:55], v[130:131], 2.0, -v[50:51]
	v_fma_f64 v[56:57], v[132:133], 2.0, -v[52:53]
	ds_write_b128 v0, v[62:65]
	ds_write_b128 v0, v[58:61] offset:3840
	v_add_u32_e32 v0, 0, v254
	v_add_f64 v[42:43], v[126:127], -v[46:47]
	v_add_f64 v[44:45], v[128:129], -v[208:209]
	ds_write_b128 v0, v[54:57] offset:30720
	ds_write_b128 v0, v[50:53] offset:34560
	v_mul_u32_u24_e32 v0, 0x1e00, v250
	v_fma_f64 v[46:47], v[126:127], 2.0, -v[42:43]
	v_fma_f64 v[48:49], v[128:129], 2.0, -v[44:45]
	v_add_f64 v[34:35], v[122:123], -v[200:201]
	v_add_f64 v[36:37], v[124:125], -v[210:211]
	v_add3_u32 v0, 0, v0, v252
	v_fma_f64 v[38:39], v[122:123], 2.0, -v[34:35]
	v_fma_f64 v[40:41], v[124:125], 2.0, -v[36:37]
	ds_write_b128 v0, v[46:49]
	ds_write_b128 v0, v[42:45] offset:3840
	v_add_u32_e32 v0, 0, v251
	v_add_f64 v[26:27], v[114:115], -v[202:203]
	v_add_f64 v[28:29], v[116:117], -v[212:213]
	ds_write_b128 v0, v[38:41] offset:38400
	ds_write_b128 v0, v[34:37] offset:42240
	v_mul_u32_u24_e32 v0, 0x1e00, v1
	v_fma_f64 v[30:31], v[114:115], 2.0, -v[26:27]
	v_fma_f64 v[32:33], v[116:117], 2.0, -v[28:29]
	v_add_f64 v[20:21], v[112:113], -v[214:215]
	v_add3_u32 v0, 0, v0, v171
	v_fma_f64 v[24:25], v[112:113], 2.0, -v[20:21]
	ds_write_b128 v0, v[30:33]
	ds_write_b128 v0, v[26:29] offset:3840
	v_add_u32_e32 v0, 0, v170
	v_add_f64 v[10:11], v[146:147], -v[206:207]
	v_add_f64 v[12:13], v[148:149], -v[216:217]
	ds_write_b128 v0, v[22:25] offset:46080
	ds_write_b128 v0, v[18:21] offset:49920
	v_mul_u32_u24_e32 v0, 0x1e00, v199
	v_fma_f64 v[14:15], v[146:147], 2.0, -v[10:11]
	v_fma_f64 v[16:17], v[148:149], 2.0, -v[12:13]
	v_add_f64 v[2:3], v[134:135], -v[162:163]
	v_add_f64 v[4:5], v[136:137], -v[176:177]
	v_add3_u32 v0, 0, v0, v169
	v_fma_f64 v[6:7], v[134:135], 2.0, -v[2:3]
	v_fma_f64 v[8:9], v[136:137], 2.0, -v[4:5]
	ds_write_b128 v0, v[14:17]
	ds_write_b128 v0, v[10:13] offset:3840
	v_add_u32_e32 v0, 0, v226
	ds_write_b128 v0, v[6:9] offset:53760
	ds_write_b128 v0, v[2:5] offset:57600
	v_add_co_u32_e32 v0, vcc, s2, v196
	s_waitcnt lgkmcnt(0)
	s_nop 0
	v_addc_co_u32_e32 v1, vcc, 0, v197, vcc
	v_add_co_u32_e32 v50, vcc, s3, v194
	s_barrier
	ds_read_b128 v[14:17], v165
	ds_read_b128 v[10:13], v165 offset:2048
	ds_read_b128 v[22:25], v165 offset:32768
	;; [unrolled: 1-line block ×3, first 2 shown]
	ds_read_b128 v[6:9], v233
	ds_read_b128 v[2:5], v182
	v_addc_co_u32_e32 v51, vcc, 0, v195, vcc
	global_load_dwordx4 v[30:33], v[0:1], off offset:3424
	global_load_dwordx4 v[26:29], v[50:51], off offset:1376
	v_accvgpr_read_b32 v0, a28
	v_accvgpr_read_b32 v1, a29
	v_lshl_add_u64 v[122:123], s[4:5], 0, v[0:1]
	v_add_co_u32_e32 v0, vcc, s2, v122
	s_movk_i32 s3, 0x1e0
	s_nop 0
	v_addc_co_u32_e32 v1, vcc, 0, v123, vcc
	v_add_u32_e32 v34, 0xffffffa0, v164
	v_cmp_gt_u32_e32 vcc, s3, v192
	v_mov_b32_e32 v125, v167
	v_mov_b32_e32 v127, v167
	v_cndmask_b32_e32 v166, v34, v192, vcc
	v_lshl_add_u64 v[34:35], v[166:167], 4, s[4:5]
	v_add_co_u32_e32 v42, vcc, s2, v34
	v_mov_b32_e32 v129, v167
	s_nop 0
	v_addc_co_u32_e32 v43, vcc, 0, v35, vcc
	global_load_dwordx4 v[34:37], v[0:1], off offset:3424
	global_load_dwordx4 v[38:41], v[42:43], off offset:3424
	s_nop 0
	global_load_dwordx4 v[42:45], v[50:51], off offset:1888
	global_load_dwordx4 v[46:49], v[50:51], off offset:3936
	v_mul_lo_u16_sdwa v50, v244, s3 dst_sel:DWORD dst_unused:UNUSED_PAD src0_sel:BYTE_3 src1_sel:DWORD
	v_sub_u16_e32 v50, v235, v50
	v_add_co_u32_e32 v0, vcc, s2, v194
	v_lshlrev_b32_e32 v124, 4, v50
	s_nop 0
	v_addc_co_u32_e32 v1, vcc, 0, v195, vcc
	v_lshl_add_u64 v[50:51], s[4:5], 0, v[124:125]
	v_add_co_u32_e32 v58, vcc, s2, v50
	v_mov_b32_e32 v131, v167
	s_nop 0
	v_addc_co_u32_e32 v59, vcc, 0, v51, vcc
	global_load_dwordx4 v[54:57], v[0:1], off offset:3936
	global_load_dwordx4 v[50:53], v[58:59], off offset:3424
	v_lshrrev_b32_e32 v0, 20, v172
	v_mul_lo_u16_e32 v0, 0x1e0, v0
	v_accvgpr_read_b32 v58, a32
	v_sub_u16_e32 v0, v221, v0
	v_lshrrev_b32_e32 v58, 20, v58
	v_lshlrev_b32_e32 v126, 4, v0
	v_mul_lo_u16_e32 v58, 0x1e0, v58
	v_lshl_add_u64 v[0:1], s[4:5], 0, v[126:127]
	v_sub_u16_e32 v58, v218, v58
	v_add_co_u32_e32 v0, vcc, s2, v0
	v_lshlrev_b32_e32 v128, 4, v58
	s_nop 0
	v_addc_co_u32_e32 v1, vcc, 0, v1, vcc
	v_lshl_add_u64 v[58:59], s[4:5], 0, v[128:129]
	v_add_co_u32_e32 v62, vcc, s2, v58
	v_mul_lo_u16_sdwa v66, v245, s3 dst_sel:DWORD dst_unused:UNUSED_PAD src0_sel:BYTE_3 src1_sel:DWORD
	s_nop 0
	v_addc_co_u32_e32 v63, vcc, 0, v59, vcc
	global_load_dwordx4 v[58:61], v[0:1], off offset:3424
	s_nop 0
	global_load_dwordx4 v[62:65], v[62:63], off offset:3424
	v_lshrrev_b32_e32 v0, 20, v173
	v_mul_lo_u16_e32 v0, 0x1e0, v0
	v_sub_u16_e32 v0, v219, v0
	v_lshlrev_b32_e32 v130, 4, v0
	v_lshl_add_u64 v[0:1], s[4:5], 0, v[130:131]
	v_sub_u16_e32 v66, v175, v66
	v_add_co_u32_e32 v0, vcc, s2, v0
	v_lshlrev_b32_e32 v132, 4, v66
	v_mov_b32_e32 v133, v167
	v_addc_co_u32_e32 v1, vcc, 0, v1, vcc
	v_lshl_add_u64 v[66:67], s[4:5], 0, v[132:133]
	v_add_co_u32_e32 v70, vcc, s2, v66
	v_accvgpr_read_b32 v74, a35
	s_nop 0
	v_addc_co_u32_e32 v71, vcc, 0, v67, vcc
	global_load_dwordx4 v[66:69], v[0:1], off offset:3424
	s_nop 0
	global_load_dwordx4 v[70:73], v[70:71], off offset:3424
	v_lshrrev_b32_e32 v0, 20, v183
	v_mul_lo_u16_e32 v0, 0x1e0, v0
	v_sub_u16_e32 v0, v193, v0
	v_lshrrev_b32_e32 v74, 20, v74
	v_lshlrev_b32_e32 v134, 4, v0
	v_mov_b32_e32 v135, v167
	v_mul_lo_u16_e32 v74, 0x1e0, v74
	v_lshl_add_u64 v[0:1], s[4:5], 0, v[134:135]
	v_sub_u16_e32 v74, v174, v74
	v_add_co_u32_e32 v0, vcc, s2, v0
	v_lshlrev_b32_e32 v136, 4, v74
	v_mov_b32_e32 v137, v167
	v_addc_co_u32_e32 v1, vcc, 0, v1, vcc
	v_lshl_add_u64 v[74:75], s[4:5], 0, v[136:137]
	v_add_co_u32_e32 v78, vcc, s2, v74
	v_mov_b32_e32 v139, v167
	s_nop 0
	v_addc_co_u32_e32 v79, vcc, 0, v75, vcc
	global_load_dwordx4 v[74:77], v[0:1], off offset:3424
	s_nop 0
	global_load_dwordx4 v[78:81], v[78:79], off offset:3424
	v_lshrrev_b32_e32 v0, 20, v184
	v_mul_lo_u16_e32 v0, 0x1e0, v0
	v_sub_u16_e32 v0, v220, v0
	v_lshlrev_b32_e32 v138, 4, v0
	v_lshl_add_u64 v[0:1], s[4:5], 0, v[138:139]
	v_add_co_u32_e32 v0, vcc, s2, v0
	s_waitcnt vmcnt(12) lgkmcnt(3)
	v_mul_f64 v[172:173], v[24:25], v[28:29]
	v_addc_co_u32_e32 v1, vcc, 0, v1, vcc
	global_load_dwordx4 v[82:85], v[0:1], off offset:3424
	ds_read_b128 v[86:89], v165 offset:30720
	ds_read_b128 v[140:143], v165 offset:8192
	;; [unrolled: 1-line block ×4, first 2 shown]
	ds_read_b128 v[144:147], v236
	ds_read_b128 v[148:151], v180
	ds_read_b128 v[98:101], v165 offset:40960
	ds_read_b128 v[102:105], v165 offset:43008
	v_fmac_f64_e32 v[172:173], v[22:23], v[26:27]
	v_mul_f64 v[22:23], v[22:23], v[28:29]
	v_fma_f64 v[22:23], v[24:25], v[26:27], -v[22:23]
	s_waitcnt vmcnt(12) lgkmcnt(10)
	v_mul_f64 v[24:25], v[20:21], v[36:37]
	v_fmac_f64_e32 v[24:25], v[18:19], v[34:35]
	v_mul_f64 v[18:19], v[18:19], v[36:37]
	v_fma_f64 v[18:19], v[20:21], v[34:35], -v[18:19]
	s_waitcnt vmcnt(11) lgkmcnt(5)
	v_mul_f64 v[20:21], v[92:93], v[40:41]
	v_mul_f64 v[26:27], v[90:91], v[40:41]
	;; [unrolled: 1-line block ×4, first 2 shown]
	v_fmac_f64_e32 v[20:21], v[90:91], v[38:39]
	v_fma_f64 v[26:27], v[92:93], v[38:39], -v[26:27]
	s_waitcnt vmcnt(10) lgkmcnt(1)
	v_mul_f64 v[36:37], v[100:101], v[44:45]
	v_mul_f64 v[38:39], v[98:99], v[44:45]
	ds_read_b128 v[152:155], v178
	ds_read_b128 v[156:159], v179
	ds_read_b128 v[106:109], v165 offset:45056
	ds_read_b128 v[110:113], v165 offset:47104
	ds_read_b128 v[198:201], v223
	ds_read_b128 v[202:205], v228
	ds_read_b128 v[114:117], v165 offset:49152
	ds_read_b128 v[118:121], v165 offset:51200
	;; [unrolled: 4-line block ×3, first 2 shown]
	ds_read_b128 v[250:253], v181
	ds_read_b128 v[160:163], v227
	v_fmac_f64_e32 v[0:1], v[86:87], v[30:31]
	v_fma_f64 v[170:171], v[88:89], v[30:31], -v[32:33]
	ds_read_b128 v[30:33], v165 offset:57344
	ds_read_b128 v[86:89], v165 offset:59392
	v_fmac_f64_e32 v[36:37], v[98:99], v[42:43]
	v_fma_f64 v[38:39], v[100:101], v[42:43], -v[38:39]
	s_waitcnt vmcnt(9) lgkmcnt(14)
	v_mul_f64 v[40:41], v[104:105], v[48:49]
	v_mul_f64 v[42:43], v[102:103], v[48:49]
	v_fmac_f64_e32 v[40:41], v[102:103], v[46:47]
	v_fma_f64 v[42:43], v[104:105], v[46:47], -v[42:43]
	s_waitcnt vmcnt(7) lgkmcnt(13)
	v_mul_f64 v[44:45], v[108:109], v[52:53]
	v_mul_f64 v[46:47], v[106:107], v[52:53]
	;; [unrolled: 5-line block ×3, first 2 shown]
	v_fma_f64 v[52:53], v[112:113], v[58:59], -v[50:51]
	s_waitcnt vmcnt(5) lgkmcnt(9)
	v_mul_f64 v[50:51], v[114:115], v[64:65]
	s_movk_i32 s2, 0x1df
	v_fmac_f64_e32 v[28:29], v[94:95], v[54:55]
	v_mul_f64 v[34:35], v[94:95], v[56:57]
	v_fma_f64 v[176:177], v[116:117], v[62:63], -v[50:51]
	v_add_f64 v[94:95], v[14:15], -v[0:1]
	v_mov_b32_e32 v0, 0x3c00
	v_cmp_lt_u32_e32 vcc, s2, v190
	v_mov_b32_e32 v169, v178
	v_mov_b32_e32 v222, v179
	s_waitcnt vmcnt(4) lgkmcnt(8)
	v_mul_f64 v[50:51], v[118:119], v[68:69]
	v_fma_f64 v[34:35], v[96:97], v[54:55], -v[34:35]
	v_mul_f64 v[48:49], v[112:113], v[60:61]
	v_mul_f64 v[178:179], v[120:121], v[68:69]
	v_fma_f64 v[180:181], v[120:121], v[66:67], -v[50:51]
	s_waitcnt vmcnt(3) lgkmcnt(5)
	v_mul_f64 v[182:183], v[216:217], v[72:73]
	v_mul_f64 v[50:51], v[214:215], v[72:73]
	v_add_f64 v[96:97], v[16:17], -v[170:171]
	v_add_f64 v[90:91], v[2:3], -v[20:21]
	;; [unrolled: 1-line block ×3, first 2 shown]
	v_cndmask_b32_e32 v0, 0, v0, vcc
	v_lshlrev_b32_e32 v1, 4, v166
	v_fmac_f64_e32 v[48:49], v[110:111], v[58:59]
	v_mul_f64 v[174:175], v[116:117], v[64:65]
	v_fmac_f64_e32 v[178:179], v[118:119], v[66:67]
	v_fmac_f64_e32 v[182:183], v[214:215], v[70:71]
	v_fma_f64 v[184:185], v[216:217], v[70:71], -v[50:51]
	v_fma_f64 v[110:111], v[14:15], 2.0, -v[94:95]
	v_fma_f64 v[112:113], v[16:17], 2.0, -v[96:97]
	v_add_f64 v[98:99], v[10:11], -v[172:173]
	v_add_f64 v[100:101], v[12:13], -v[22:23]
	;; [unrolled: 1-line block ×3, first 2 shown]
	s_waitcnt vmcnt(2) lgkmcnt(4)
	v_mul_f64 v[186:187], v[248:249], v[76:77]
	s_waitcnt vmcnt(1) lgkmcnt(1)
	v_mul_f64 v[192:193], v[32:33], v[80:81]
	v_fmac_f64_e32 v[192:193], v[30:31], v[78:79]
	v_mul_f64 v[30:31], v[30:31], v[80:81]
	v_mul_f64 v[50:51], v[246:247], v[76:77]
	v_fma_f64 v[214:215], v[32:33], v[78:79], -v[30:31]
	v_add_f64 v[104:105], v[8:9], -v[18:19]
	v_fma_f64 v[106:107], v[2:3], 2.0, -v[90:91]
	v_fma_f64 v[108:109], v[4:5], 2.0, -v[92:93]
	v_add_f64 v[78:79], v[140:141], -v[28:29]
	v_add_f64 v[80:81], v[142:143], -v[34:35]
	;; [unrolled: 1-line block ×3, first 2 shown]
	s_waitcnt vmcnt(0) lgkmcnt(0)
	v_mul_f64 v[216:217], v[88:89], v[84:85]
	v_mul_f64 v[30:31], v[86:87], v[84:85]
	v_add_f64 v[72:73], v[146:147], -v[38:39]
	v_add_f64 v[66:67], v[148:149], -v[40:41]
	v_add_f64 v[68:69], v[150:151], -v[42:43]
	s_movk_i32 s3, 0x3c00
	v_add3_u32 v0, 0, v0, v1
	v_fmac_f64_e32 v[174:175], v[114:115], v[62:63]
	v_fmac_f64_e32 v[186:187], v[246:247], v[74:75]
	v_fma_f64 v[188:189], v[248:249], v[74:75], -v[50:51]
	v_fmac_f64_e32 v[216:217], v[86:87], v[82:83]
	v_fma_f64 v[220:221], v[88:89], v[82:83], -v[30:31]
	v_fma_f64 v[114:115], v[10:11], 2.0, -v[98:99]
	v_fma_f64 v[116:117], v[12:13], 2.0, -v[100:101]
	;; [unrolled: 1-line block ×10, first 2 shown]
	v_add_f64 v[58:59], v[152:153], -v[44:45]
	v_add_f64 v[60:61], v[154:155], -v[46:47]
	s_barrier
	ds_write_b128 v165, v[110:113]
	ds_write_b128 v165, v[94:97] offset:7680
	ds_write_b128 v165, v[114:117] offset:2048
	;; [unrolled: 1-line block ×3, first 2 shown]
	ds_write_b128 v233, v[118:121]
	ds_write_b128 v233, v[102:105] offset:7680
	ds_write_b128 v0, v[106:109]
	ds_write_b128 v0, v[90:93] offset:7680
	ds_write_b128 v165, v[86:89] offset:15872
	;; [unrolled: 1-line block ×7, first 2 shown]
	v_mul_u32_u24_sdwa v0, v244, s3 dst_sel:DWORD dst_unused:UNUSED_PAD src0_sel:BYTE_3 src1_sel:DWORD
	v_fma_f64 v[62:63], v[152:153], 2.0, -v[58:59]
	v_fma_f64 v[64:65], v[154:155], 2.0, -v[60:61]
	v_add_f64 v[50:51], v[156:157], -v[48:49]
	v_add_f64 v[52:53], v[158:159], -v[52:53]
	v_add3_u32 v0, 0, v0, v124
	v_fma_f64 v[54:55], v[156:157], 2.0, -v[50:51]
	v_fma_f64 v[56:57], v[158:159], 2.0, -v[52:53]
	v_add_f64 v[42:43], v[198:199], -v[174:175]
	v_add_f64 v[44:45], v[200:201], -v[176:177]
	ds_write_b128 v0, v[62:65]
	ds_write_b128 v0, v[58:61] offset:7680
	v_add_u32_e32 v0, 0, v126
	v_fma_f64 v[46:47], v[198:199], 2.0, -v[42:43]
	v_fma_f64 v[48:49], v[200:201], 2.0, -v[44:45]
	v_add_f64 v[34:35], v[202:203], -v[178:179]
	v_add_f64 v[36:37], v[204:205], -v[180:181]
	ds_write_b128 v0, v[54:57] offset:30720
	ds_write_b128 v0, v[50:53] offset:38400
	v_add_u32_e32 v0, 0, v128
	v_fma_f64 v[38:39], v[202:203], 2.0, -v[34:35]
	v_fma_f64 v[40:41], v[204:205], 2.0, -v[36:37]
	ds_write_b128 v0, v[46:49] offset:30720
	ds_write_b128 v0, v[42:45] offset:38400
	v_add_u32_e32 v0, 0, v130
	v_add_f64 v[26:27], v[206:207], -v[182:183]
	v_add_f64 v[28:29], v[208:209], -v[184:185]
	ds_write_b128 v0, v[38:41] offset:30720
	ds_write_b128 v0, v[34:37] offset:38400
	v_mul_u32_u24_sdwa v0, v245, s3 dst_sel:DWORD dst_unused:UNUSED_PAD src0_sel:BYTE_3 src1_sel:DWORD
	v_fma_f64 v[30:31], v[206:207], 2.0, -v[26:27]
	v_fma_f64 v[32:33], v[208:209], 2.0, -v[28:29]
	v_add_f64 v[18:19], v[210:211], -v[186:187]
	v_add_f64 v[20:21], v[212:213], -v[188:189]
	v_add3_u32 v0, 0, v0, v132
	v_fma_f64 v[22:23], v[210:211], 2.0, -v[18:19]
	v_fma_f64 v[24:25], v[212:213], 2.0, -v[20:21]
	v_add_f64 v[10:11], v[250:251], -v[192:193]
	v_add_f64 v[12:13], v[252:253], -v[214:215]
	ds_write_b128 v0, v[30:33]
	ds_write_b128 v0, v[26:29] offset:7680
	v_add_u32_e32 v0, 0, v134
	v_fma_f64 v[14:15], v[250:251], 2.0, -v[10:11]
	v_fma_f64 v[16:17], v[252:253], 2.0, -v[12:13]
	v_add_f64 v[2:3], v[160:161], -v[216:217]
	v_add_f64 v[4:5], v[162:163], -v[220:221]
	ds_write_b128 v0, v[22:25] offset:46080
	ds_write_b128 v0, v[18:21] offset:53760
	v_add_u32_e32 v0, 0, v136
	v_fma_f64 v[6:7], v[160:161], 2.0, -v[2:3]
	v_fma_f64 v[8:9], v[162:163], 2.0, -v[4:5]
	ds_write_b128 v0, v[14:17] offset:46080
	ds_write_b128 v0, v[10:13] offset:53760
	v_add_u32_e32 v0, 0, v138
	s_movk_i32 s2, 0x3000
	ds_write_b128 v0, v[6:9] offset:46080
	ds_write_b128 v0, v[2:5] offset:53760
	v_add_co_u32_e32 v0, vcc, s2, v196
	s_movk_i32 s3, 0x4000
	s_nop 0
	v_addc_co_u32_e32 v1, vcc, 0, v197, vcc
	v_add_co_u32_e32 v38, vcc, s3, v194
	v_accvgpr_read_b32 v10, a26
	s_nop 0
	v_addc_co_u32_e32 v39, vcc, 0, v195, vcc
	s_waitcnt lgkmcnt(0)
	s_barrier
	global_load_dwordx4 v[6:9], v[0:1], off offset:2912
	global_load_dwordx4 v[2:5], v[38:39], off offset:864
	v_add_co_u32_e32 v0, vcc, s2, v122
	v_accvgpr_read_b32 v11, a27
	s_nop 0
	v_addc_co_u32_e32 v1, vcc, 0, v123, vcc
	v_lshl_add_u64 v[78:79], s[4:5], 0, v[10:11]
	v_add_co_u32_e32 v18, vcc, s2, v78
	v_accvgpr_read_b32 v217, a1
	s_nop 0
	v_addc_co_u32_e32 v19, vcc, 0, v79, vcc
	global_load_dwordx4 v[10:13], v[0:1], off offset:2912
	global_load_dwordx4 v[14:17], v[18:19], off offset:2912
	v_accvgpr_read_b32 v0, a24
	v_accvgpr_read_b32 v1, a25
	v_lshl_add_u64 v[80:81], s[4:5], 0, v[0:1]
	v_accvgpr_read_b32 v18, a22
	v_add_co_u32_e32 v0, vcc, s2, v80
	v_accvgpr_read_b32 v19, a23
	s_nop 0
	v_addc_co_u32_e32 v1, vcc, 0, v81, vcc
	v_lshl_add_u64 v[82:83], s[4:5], 0, v[18:19]
	v_add_co_u32_e32 v18, vcc, s2, v82
	v_mov_b32_e32 v226, v168
	s_nop 0
	v_addc_co_u32_e32 v19, vcc, 0, v83, vcc
	global_load_dwordx4 v[26:29], v[0:1], off offset:2912
	global_load_dwordx4 v[30:33], v[18:19], off offset:2912
	v_accvgpr_read_b32 v0, a20
	v_accvgpr_read_b32 v1, a21
	v_lshl_add_u64 v[84:85], s[4:5], 0, v[0:1]
	v_add_co_u32_e32 v0, vcc, s2, v84
	v_mov_b32_e32 v218, v191
	s_nop 0
	v_addc_co_u32_e32 v1, vcc, 0, v85, vcc
	global_load_dwordx4 v[34:37], v[0:1], off offset:2912
	v_accvgpr_read_b32 v0, a2
	v_subrev_u32_e32 v0, 64, v0
	v_cmp_gt_u32_e32 vcc, s8, v235
	v_mov_b32_e32 v192, v169
	v_accvgpr_read_b32 v214, a0
	v_cndmask_b32_e32 v166, v0, v235, vcc
	v_lshl_add_u64 v[0:1], v[166:167], 4, s[4:5]
	v_add_co_u32_e32 v0, vcc, s2, v0
	v_mov_b32_e32 v215, v167
	s_nop 0
	v_addc_co_u32_e32 v1, vcc, 0, v1, vcc
	global_load_dwordx4 v[70:73], v[0:1], off offset:2912
	v_add_co_u32_e32 v0, vcc, s2, v194
	s_movk_i32 s2, 0x5000
	s_nop 0
	v_addc_co_u32_e32 v1, vcc, 0, v195, vcc
	global_load_dwordx4 v[86:89], v[0:1], off offset:3936
	v_add_co_u32_e32 v0, vcc, s2, v194
	ds_read_b128 v[22:25], v165
	ds_read_b128 v[18:21], v165 offset:2048
	global_load_dwordx4 v[90:93], v[38:39], off offset:1888
	global_load_dwordx4 v[94:97], v[38:39], off offset:3936
	v_addc_co_u32_e32 v1, vcc, 0, v195, vcc
	s_movk_i32 s2, 0x6000
	global_load_dwordx4 v[98:101], v[0:1], off offset:1888
	ds_read_b128 v[102:105], v165 offset:32768
	ds_read_b128 v[106:109], v165 offset:34816
	global_load_dwordx4 v[110:113], v[0:1], off offset:3936
	v_add_co_u32_e32 v0, vcc, s2, v194
	ds_read_b128 v[118:121], v233
	ds_read_b128 v[124:127], v191
	v_addc_co_u32_e32 v1, vcc, 0, v195, vcc
	global_load_dwordx4 v[114:117], v[0:1], off offset:1888
	global_load_dwordx4 v[128:131], v[0:1], off offset:3936
	ds_read_b128 v[132:135], v165 offset:30720
	ds_read_b128 v[136:139], v165 offset:8192
	;; [unrolled: 1-line block ×4, first 2 shown]
	ds_read_b128 v[148:151], v236
	ds_read_b128 v[74:77], v217
	ds_read_b128 v[152:155], v165 offset:40960
	ds_read_b128 v[156:159], v165 offset:43008
	ds_read_b128 v[66:69], v169
	ds_read_b128 v[62:65], v222
	ds_read_b128 v[160:163], v165 offset:45056
	ds_read_b128 v[168:171], v165 offset:47104
	;; [unrolled: 4-line block ×5, first 2 shown]
	s_movk_i32 s2, 0x3bf
	s_waitcnt vmcnt(14) lgkmcnt(14)
	v_mul_f64 v[0:1], v[134:135], v[8:9]
	v_mul_f64 v[8:9], v[132:133], v[8:9]
	v_fmac_f64_e32 v[0:1], v[132:133], v[6:7]
	v_fma_f64 v[6:7], v[134:135], v[6:7], -v[8:9]
	s_waitcnt vmcnt(13)
	v_mul_f64 v[8:9], v[104:105], v[4:5]
	v_mul_f64 v[4:5], v[102:103], v[4:5]
	v_fmac_f64_e32 v[8:9], v[102:103], v[2:3]
	v_fma_f64 v[2:3], v[104:105], v[2:3], -v[4:5]
	v_cmp_lt_u32_e32 vcc, s2, v235
	s_movk_i32 s2, 0x7000
	s_waitcnt lgkmcnt(0)
	s_barrier
	s_waitcnt vmcnt(12)
	v_mul_f64 v[4:5], v[108:109], v[12:13]
	v_mul_f64 v[12:13], v[106:107], v[12:13]
	v_fmac_f64_e32 v[4:5], v[106:107], v[10:11]
	v_fma_f64 v[10:11], v[108:109], v[10:11], -v[12:13]
	s_waitcnt vmcnt(11)
	v_mul_f64 v[12:13], v[142:143], v[16:17]
	v_mul_f64 v[16:17], v[140:141], v[16:17]
	v_fmac_f64_e32 v[12:13], v[140:141], v[14:15]
	v_fma_f64 v[14:15], v[142:143], v[14:15], -v[16:17]
	v_add_f64 v[106:107], v[124:125], -v[12:13]
	v_add_f64 v[108:109], v[126:127], -v[14:15]
	s_waitcnt vmcnt(10)
	v_mul_f64 v[16:17], v[146:147], v[28:29]
	v_mul_f64 v[28:29], v[144:145], v[28:29]
	v_fmac_f64_e32 v[16:17], v[144:145], v[26:27]
	v_fma_f64 v[26:27], v[146:147], v[26:27], -v[28:29]
	s_waitcnt vmcnt(9)
	v_mul_f64 v[28:29], v[154:155], v[32:33]
	v_mul_f64 v[32:33], v[152:153], v[32:33]
	v_fmac_f64_e32 v[28:29], v[152:153], v[30:31]
	v_fma_f64 v[30:31], v[154:155], v[30:31], -v[32:33]
	;; [unrolled: 5-line block ×3, first 2 shown]
	v_add_f64 v[132:133], v[74:75], -v[32:33]
	v_add_f64 v[134:135], v[76:77], -v[34:35]
	v_fma_f64 v[74:75], v[74:75], 2.0, -v[132:133]
	v_fma_f64 v[76:77], v[76:77], 2.0, -v[134:135]
	s_waitcnt vmcnt(7)
	v_mul_f64 v[36:37], v[162:163], v[72:73]
	v_mul_f64 v[72:73], v[160:161], v[72:73]
	v_fmac_f64_e32 v[36:37], v[160:161], v[70:71]
	v_fma_f64 v[140:141], v[162:163], v[70:71], -v[72:73]
	v_add_f64 v[72:73], v[24:25], -v[6:7]
	s_waitcnt vmcnt(6)
	v_mul_f64 v[70:71], v[168:169], v[88:89]
	v_fma_f64 v[146:147], v[170:171], v[86:87], -v[70:71]
	v_mul_f64 v[144:145], v[170:171], v[88:89]
	s_waitcnt vmcnt(5)
	v_mul_f64 v[70:71], v[184:185], v[92:93]
	v_fma_f64 v[154:155], v[186:187], v[90:91], -v[70:71]
	s_waitcnt vmcnt(4)
	v_mul_f64 v[70:71], v[188:189], v[96:97]
	v_fma_f64 v[158:159], v[190:191], v[94:95], -v[70:71]
	v_fmac_f64_e32 v[144:145], v[168:169], v[86:87]
	s_waitcnt vmcnt(3)
	v_mul_f64 v[70:71], v[198:199], v[100:101]
	v_fma_f64 v[162:163], v[200:201], v[98:99], -v[70:71]
	s_waitcnt vmcnt(2)
	v_mul_f64 v[70:71], v[202:203], v[112:113]
	v_mul_f64 v[160:161], v[200:201], v[100:101]
	v_fma_f64 v[170:171], v[204:205], v[110:111], -v[70:71]
	v_fmac_f64_e32 v[160:161], v[198:199], v[98:99]
	v_mul_f64 v[168:169], v[204:205], v[112:113]
	v_add_f64 v[98:99], v[118:119], -v[4:5]
	v_add_f64 v[100:101], v[120:121], -v[10:11]
	s_waitcnt vmcnt(1)
	v_mul_f64 v[172:173], v[208:209], v[116:117]
	v_mul_f64 v[70:71], v[206:207], v[116:117]
	v_fmac_f64_e32 v[172:173], v[206:207], v[114:115]
	v_fma_f64 v[174:175], v[208:209], v[114:115], -v[70:71]
	v_add_f64 v[114:115], v[136:137], -v[16:17]
	v_add_f64 v[116:117], v[138:139], -v[26:27]
	v_mul_f64 v[152:153], v[186:187], v[92:93]
	v_mul_f64 v[156:157], v[190:191], v[96:97]
	v_fmac_f64_e32 v[168:169], v[202:203], v[110:111]
	s_waitcnt vmcnt(0)
	v_mul_f64 v[176:177], v[212:213], v[130:131]
	v_mul_f64 v[70:71], v[210:211], v[130:131]
	v_fma_f64 v[102:103], v[118:119], 2.0, -v[98:99]
	v_fma_f64 v[104:105], v[120:121], 2.0, -v[100:101]
	;; [unrolled: 1-line block ×4, first 2 shown]
	v_add_f64 v[136:137], v[66:67], -v[36:37]
	v_add_f64 v[138:139], v[68:69], -v[140:141]
	v_mov_b32_e32 v36, 0x7800
	v_fmac_f64_e32 v[152:153], v[184:185], v[90:91]
	v_fmac_f64_e32 v[156:157], v[188:189], v[94:95]
	;; [unrolled: 1-line block ×3, first 2 shown]
	v_fma_f64 v[178:179], v[212:213], v[128:129], -v[70:71]
	v_add_f64 v[70:71], v[22:23], -v[0:1]
	v_add_f64 v[92:93], v[20:21], -v[2:3]
	v_fma_f64 v[140:141], v[66:67], 2.0, -v[136:137]
	v_fma_f64 v[142:143], v[68:69], 2.0, -v[138:139]
	v_add_f64 v[66:67], v[62:63], -v[144:145]
	v_add_f64 v[68:69], v[64:65], -v[146:147]
	;; [unrolled: 1-line block ×3, first 2 shown]
	v_cndmask_b32_e32 v36, 0, v36, vcc
	v_lshlrev_b32_e32 v37, 4, v166
	v_fma_f64 v[86:87], v[22:23], 2.0, -v[70:71]
	v_fma_f64 v[88:89], v[24:25], 2.0, -v[72:73]
	v_add_f64 v[90:91], v[18:19], -v[8:9]
	v_fma_f64 v[96:97], v[20:21], 2.0, -v[92:93]
	v_fma_f64 v[110:111], v[124:125], 2.0, -v[106:107]
	;; [unrolled: 1-line block ×3, first 2 shown]
	v_add_f64 v[124:125], v[148:149], -v[28:29]
	v_add_f64 v[126:127], v[150:151], -v[30:31]
	v_fma_f64 v[144:145], v[62:63], 2.0, -v[66:67]
	v_fma_f64 v[146:147], v[64:65], 2.0, -v[68:69]
	v_add_f64 v[62:63], v[58:59], -v[152:153]
	v_add_f64 v[64:65], v[60:61], -v[154:155]
	;; [unrolled: 1-line block ×7, first 2 shown]
	v_fma_f64 v[24:25], v[46:47], 2.0, -v[12:13]
	v_add_f64 v[4:5], v[42:43], -v[172:173]
	v_add_f64 v[6:7], v[44:45], -v[174:175]
	;; [unrolled: 1-line block ×4, first 2 shown]
	v_accvgpr_read_b32 v199, a1
	v_add3_u32 v36, 0, v36, v37
	v_fma_f64 v[94:95], v[18:19], 2.0, -v[90:91]
	v_fma_f64 v[128:129], v[148:149], 2.0, -v[124:125]
	;; [unrolled: 1-line block ×14, first 2 shown]
	ds_write_b128 v165, v[86:89]
	ds_write_b128 v165, v[70:73] offset:15360
	ds_write_b128 v165, v[94:97] offset:2048
	ds_write_b128 v165, v[90:93] offset:17408
	ds_write_b128 v233, v[102:105]
	ds_write_b128 v233, v[98:101] offset:15360
	ds_write_b128 v218, v[110:113]
	ds_write_b128 v218, v[106:109] offset:15360
	ds_write_b128 v165, v[118:121] offset:8192
	;; [unrolled: 1-line block ×3, first 2 shown]
	ds_write_b128 v236, v[128:131]
	ds_write_b128 v236, v[124:127] offset:15360
	ds_write_b128 v199, v[74:77]
	ds_write_b128 v199, v[132:135] offset:15360
	ds_write_b128 v36, v[140:143]
	ds_write_b128 v36, v[136:139] offset:15360
	ds_write_b128 v165, v[144:147] offset:31744
	ds_write_b128 v165, v[66:69] offset:47104
	;; [unrolled: 1-line block ×14, first 2 shown]
	v_add_co_u32_e32 v24, vcc, s2, v196
	s_waitcnt lgkmcnt(0)
	s_nop 0
	v_addc_co_u32_e32 v25, vcc, 0, v197, vcc
	v_add_co_u32_e32 v26, vcc, s2, v194
	s_barrier
	s_nop 0
	v_addc_co_u32_e32 v27, vcc, 0, v195, vcc
	v_add_co_u32_e32 v40, vcc, s2, v122
	s_nop 1
	v_addc_co_u32_e32 v41, vcc, 0, v123, vcc
	v_add_co_u32_e32 v42, vcc, s2, v78
	ds_read_b128 v[12:15], v165
	ds_read_b128 v[8:11], v165 offset:2048
	ds_read_b128 v[20:23], v165 offset:32768
	;; [unrolled: 1-line block ×3, first 2 shown]
	ds_read_b128 v[4:7], v233
	ds_read_b128 v[0:3], v218
	v_addc_co_u32_e32 v43, vcc, 0, v79, vcc
	v_add_co_u32_e32 v48, vcc, s2, v80
	global_load_dwordx4 v[28:31], v[24:25], off offset:1888
	s_nop 0
	global_load_dwordx4 v[24:27], v[26:27], off offset:3936
	v_addc_co_u32_e32 v49, vcc, 0, v81, vcc
	v_add_co_u32_e32 v50, vcc, s2, v82
	global_load_dwordx4 v[32:35], v[40:41], off offset:1888
	global_load_dwordx4 v[36:39], v[42:43], off offset:1888
	v_addc_co_u32_e32 v51, vcc, 0, v83, vcc
	global_load_dwordx4 v[40:43], v[48:49], off offset:1888
	global_load_dwordx4 v[44:47], v[50:51], off offset:1888
	v_accvgpr_read_b32 v49, a19
	v_add_co_u32_e32 v56, vcc, s2, v84
	v_accvgpr_read_b32 v48, a18
	s_nop 0
	v_addc_co_u32_e32 v57, vcc, 0, v85, vcc
	v_lshl_add_u64 v[48:49], s[4:5], 0, v[48:49]
	v_add_co_u32_e32 v58, vcc, s2, v48
	v_accvgpr_read_b32 v198, a3
	s_nop 0
	v_addc_co_u32_e32 v59, vcc, 0, v49, vcc
	global_load_dwordx4 v[48:51], v[56:57], off offset:1888
	global_load_dwordx4 v[52:55], v[58:59], off offset:1888
	v_accvgpr_read_b32 v57, a17
	v_accvgpr_read_b32 v56, a16
	v_lshl_add_u64 v[56:57], s[4:5], 0, v[56:57]
	v_add_co_u32_e32 v64, vcc, s2, v56
	v_accvgpr_read_b32 v197, a5
	s_nop 0
	v_addc_co_u32_e32 v65, vcc, 0, v57, vcc
	v_accvgpr_read_b32 v57, a15
	v_accvgpr_read_b32 v56, a14
	v_lshl_add_u64 v[56:57], s[4:5], 0, v[56:57]
	v_add_co_u32_e32 v66, vcc, s2, v56
	v_mov_b32_e32 v166, v223
	s_nop 0
	v_addc_co_u32_e32 v67, vcc, 0, v57, vcc
	global_load_dwordx4 v[56:59], v[64:65], off offset:1888
	global_load_dwordx4 v[60:63], v[66:67], off offset:1888
	v_accvgpr_read_b32 v65, a13
	v_accvgpr_read_b32 v64, a12
	v_lshl_add_u64 v[64:65], s[4:5], 0, v[64:65]
	v_add_co_u32_e32 v72, vcc, s2, v64
	s_nop 1
	v_addc_co_u32_e32 v73, vcc, 0, v65, vcc
	v_accvgpr_read_b32 v65, a11
	v_accvgpr_read_b32 v64, a10
	v_lshl_add_u64 v[64:65], s[4:5], 0, v[64:65]
	v_add_co_u32_e32 v74, vcc, s2, v64
	s_nop 1
	v_addc_co_u32_e32 v75, vcc, 0, v65, vcc
	global_load_dwordx4 v[64:67], v[72:73], off offset:1888
	global_load_dwordx4 v[68:71], v[74:75], off offset:1888
	v_accvgpr_read_b32 v73, a9
	v_accvgpr_read_b32 v72, a8
	v_lshl_add_u64 v[72:73], s[4:5], 0, v[72:73]
	v_add_co_u32_e32 v80, vcc, s2, v72
	s_nop 1
	v_addc_co_u32_e32 v81, vcc, 0, v73, vcc
	v_accvgpr_read_b32 v73, a7
	v_accvgpr_read_b32 v72, a6
	v_lshl_add_u64 v[72:73], s[4:5], 0, v[72:73]
	v_add_co_u32_e32 v82, vcc, s2, v72
	s_nop 1
	v_addc_co_u32_e32 v83, vcc, 0, v73, vcc
	global_load_dwordx4 v[72:75], v[80:81], off offset:1888
	global_load_dwordx4 v[76:79], v[82:83], off offset:1888
	v_lshl_add_u64 v[80:81], s[4:5], 0, v[214:215]
	v_add_co_u32_e32 v80, vcc, s2, v80
	s_nop 1
	v_addc_co_u32_e32 v81, vcc, 0, v81, vcc
	global_load_dwordx4 v[80:83], v[80:81], off offset:1888
	ds_read_b128 v[84:87], v165 offset:30720
	ds_read_b128 v[88:91], v165 offset:8192
	;; [unrolled: 1-line block ×4, first 2 shown]
	ds_read_b128 v[100:103], v236
	ds_read_b128 v[104:107], v199
	ds_read_b128 v[108:111], v165 offset:40960
	ds_read_b128 v[112:115], v165 offset:43008
	ds_read_b128 v[116:119], v192
	ds_read_b128 v[120:123], v222
	ds_read_b128 v[124:127], v165 offset:45056
	ds_read_b128 v[128:131], v165 offset:47104
	s_waitcnt vmcnt(14) lgkmcnt(11)
	v_mul_f64 v[184:185], v[86:87], v[30:31]
	v_mul_f64 v[30:31], v[84:85], v[30:31]
	v_fmac_f64_e32 v[184:185], v[84:85], v[28:29]
	v_fma_f64 v[28:29], v[86:87], v[28:29], -v[30:31]
	s_waitcnt vmcnt(13)
	v_mul_f64 v[30:31], v[22:23], v[26:27]
	v_fmac_f64_e32 v[30:31], v[20:21], v[24:25]
	v_mul_f64 v[20:21], v[20:21], v[26:27]
	v_fma_f64 v[20:21], v[22:23], v[24:25], -v[20:21]
	s_waitcnt vmcnt(12)
	v_mul_f64 v[22:23], v[18:19], v[34:35]
	v_fmac_f64_e32 v[22:23], v[16:17], v[32:33]
	v_mul_f64 v[16:17], v[16:17], v[34:35]
	v_fma_f64 v[16:17], v[18:19], v[32:33], -v[16:17]
	s_waitcnt vmcnt(10) lgkmcnt(8)
	v_mul_f64 v[26:27], v[98:99], v[42:43]
	v_mul_f64 v[32:33], v[96:97], v[42:43]
	;; [unrolled: 1-line block ×4, first 2 shown]
	v_fmac_f64_e32 v[26:27], v[96:97], v[40:41]
	v_fma_f64 v[32:33], v[98:99], v[40:41], -v[32:33]
	ds_read_b128 v[132:135], v223
	s_waitcnt vmcnt(8) lgkmcnt(5)
	v_mul_f64 v[38:39], v[114:115], v[50:51]
	v_mul_f64 v[40:41], v[112:113], v[50:51]
	ds_read_b128 v[136:139], v198
	ds_read_b128 v[140:143], v165 offset:49152
	ds_read_b128 v[144:147], v165 offset:51200
	ds_read_b128 v[148:151], v224
	ds_read_b128 v[152:155], v225
	ds_read_b128 v[156:159], v165 offset:53248
	ds_read_b128 v[160:163], v165 offset:55296
	ds_read_b128 v[168:171], v226
	v_fmac_f64_e32 v[38:39], v[112:113], v[48:49]
	v_fma_f64 v[40:41], v[114:115], v[48:49], -v[40:41]
	ds_read_b128 v[172:175], v197
	ds_read_b128 v[176:179], v165 offset:57344
	ds_read_b128 v[180:183], v165 offset:59392
	v_fmac_f64_e32 v[18:19], v[92:93], v[36:37]
	v_fma_f64 v[24:25], v[94:95], v[36:37], -v[24:25]
	v_mul_f64 v[34:35], v[110:111], v[46:47]
	v_mul_f64 v[36:37], v[108:109], v[46:47]
	v_fmac_f64_e32 v[34:35], v[108:109], v[44:45]
	v_fma_f64 v[36:37], v[110:111], v[44:45], -v[36:37]
	s_waitcnt vmcnt(7) lgkmcnt(13)
	v_mul_f64 v[42:43], v[126:127], v[54:55]
	v_mul_f64 v[44:45], v[124:125], v[54:55]
	v_fmac_f64_e32 v[42:43], v[124:125], v[52:53]
	v_fma_f64 v[44:45], v[126:127], v[52:53], -v[44:45]
	v_add_f64 v[84:85], v[12:13], -v[184:185]
	s_waitcnt vmcnt(6) lgkmcnt(12)
	v_mul_f64 v[48:49], v[128:129], v[58:59]
	v_fma_f64 v[50:51], v[130:131], v[56:57], -v[48:49]
	s_waitcnt vmcnt(5) lgkmcnt(9)
	v_mul_f64 v[48:49], v[140:141], v[62:63]
	v_fma_f64 v[188:189], v[142:143], v[60:61], -v[48:49]
	v_mul_f64 v[46:47], v[130:131], v[58:59]
	v_mul_f64 v[186:187], v[142:143], v[62:63]
	v_fmac_f64_e32 v[46:47], v[128:129], v[56:57]
	v_fmac_f64_e32 v[186:187], v[140:141], v[60:61]
	v_add_f64 v[86:87], v[14:15], -v[28:29]
	v_fma_f64 v[92:93], v[12:13], 2.0, -v[84:85]
	v_fma_f64 v[94:95], v[14:15], 2.0, -v[86:87]
	v_add_f64 v[96:97], v[8:9], -v[30:31]
	v_add_f64 v[98:99], v[10:11], -v[20:21]
	;; [unrolled: 1-line block ×6, first 2 shown]
	s_waitcnt vmcnt(4) lgkmcnt(8)
	v_mul_f64 v[190:191], v[146:147], v[66:67]
	v_mul_f64 v[48:49], v[144:145], v[66:67]
	v_fmac_f64_e32 v[190:191], v[144:145], v[64:65]
	v_fma_f64 v[144:145], v[146:147], v[64:65], -v[48:49]
	s_waitcnt vmcnt(3) lgkmcnt(5)
	v_mul_f64 v[146:147], v[158:159], v[70:71]
	v_mul_f64 v[48:49], v[156:157], v[70:71]
	v_fmac_f64_e32 v[146:147], v[156:157], v[68:69]
	v_fma_f64 v[156:157], v[158:159], v[68:69], -v[48:49]
	v_add_f64 v[64:65], v[104:105], -v[38:39]
	v_add_f64 v[66:67], v[106:107], -v[40:41]
	;; [unrolled: 1-line block ×8, first 2 shown]
	v_fma_f64 v[108:109], v[8:9], 2.0, -v[96:97]
	s_waitcnt vmcnt(2) lgkmcnt(4)
	v_mul_f64 v[158:159], v[162:163], v[74:75]
	v_mul_f64 v[48:49], v[160:161], v[74:75]
	v_fmac_f64_e32 v[158:159], v[160:161], v[72:73]
	v_fma_f64 v[160:161], v[162:163], v[72:73], -v[48:49]
	s_waitcnt vmcnt(1) lgkmcnt(1)
	v_mul_f64 v[162:163], v[178:179], v[78:79]
	v_mul_f64 v[48:49], v[176:177], v[78:79]
	v_fmac_f64_e32 v[162:163], v[176:177], v[76:77]
	v_fma_f64 v[176:177], v[178:179], v[76:77], -v[48:49]
	;; [unrolled: 5-line block ×3, first 2 shown]
	v_add_f64 v[80:81], v[88:89], -v[26:27]
	v_add_f64 v[82:83], v[90:91], -v[32:33]
	;; [unrolled: 1-line block ×6, first 2 shown]
	v_fma_f64 v[110:111], v[10:11], 2.0, -v[98:99]
	v_fma_f64 v[124:125], v[4:5], 2.0, -v[112:113]
	;; [unrolled: 1-line block ×19, first 2 shown]
	v_add_f64 v[20:21], v[148:149], -v[146:147]
	v_add_f64 v[22:23], v[150:151], -v[156:157]
	;; [unrolled: 1-line block ×8, first 2 shown]
	s_barrier
	ds_write_b128 v165, v[92:95]
	ds_write_b128 v165, v[84:87] offset:30720
	ds_write_b128 v165, v[108:111] offset:2048
	;; [unrolled: 1-line block ×3, first 2 shown]
	ds_write_b128 v233, v[124:127]
	ds_write_b128 v233, v[112:115] offset:30720
	ds_write_b128 v218, v[140:143]
	ds_write_b128 v218, v[128:131] offset:30720
	ds_write_b128 v165, v[88:91] offset:8192
	;; [unrolled: 1-line block ×3, first 2 shown]
	ds_write_b128 v236, v[76:79]
	ds_write_b128 v236, v[72:75] offset:30720
	ds_write_b128 v199, v[68:71]
	ds_write_b128 v199, v[64:67] offset:30720
	ds_write_b128 v192, v[60:63]
	ds_write_b128 v192, v[56:59] offset:30720
	ds_write_b128 v222, v[52:55]
	ds_write_b128 v222, v[48:51] offset:30720
	ds_write_b128 v223, v[44:47]
	ds_write_b128 v223, v[36:39] offset:30720
	v_accvgpr_read_b32 v36, a3
	v_fma_f64 v[32:33], v[148:149], 2.0, -v[20:21]
	v_fma_f64 v[34:35], v[150:151], 2.0, -v[22:23]
	;; [unrolled: 1-line block ×8, first 2 shown]
	ds_write_b128 v36, v[40:43]
	ds_write_b128 v36, v[28:31] offset:30720
	ds_write_b128 v224, v[32:35]
	ds_write_b128 v224, v[20:23] offset:30720
	;; [unrolled: 2-line block ×4, first 2 shown]
	v_accvgpr_read_b32 v4, a5
	ds_write_b128 v4, v[8:11]
	ds_write_b128 v4, v[0:3] offset:30720
	s_waitcnt lgkmcnt(0)
	s_barrier
	s_and_saveexec_b64 s[2:3], s[0:1]
	s_cbranch_execz .LBB0_19
; %bb.18:
	v_lshl_add_u32 v10, v164, 4, 0
	ds_read_b128 v[0:3], v10
	ds_read_b128 v[4:7], v10 offset:2048
	v_mov_b32_e32 v165, v167
	v_add_u32_e32 v166, 0x80, v164
	v_lshl_add_u64 v[8:9], v[164:165], 4, v[230:231]
	s_waitcnt lgkmcnt(1)
	global_store_dwordx4 v[8:9], v[0:3], off
	v_lshl_add_u64 v[8:9], v[166:167], 4, v[230:231]
	ds_read_b128 v[0:3], v10 offset:4096
	s_waitcnt lgkmcnt(1)
	global_store_dwordx4 v[8:9], v[4:7], off
	ds_read_b128 v[4:7], v10 offset:6144
	v_add_u32_e32 v166, 0x100, v164
	v_lshl_add_u64 v[8:9], v[166:167], 4, v[230:231]
	v_add_u32_e32 v166, 0x180, v164
	s_waitcnt lgkmcnt(1)
	global_store_dwordx4 v[8:9], v[0:3], off
	v_lshl_add_u64 v[8:9], v[166:167], 4, v[230:231]
	ds_read_b128 v[0:3], v10 offset:8192
	s_waitcnt lgkmcnt(1)
	global_store_dwordx4 v[8:9], v[4:7], off
	ds_read_b128 v[4:7], v10 offset:10240
	v_add_u32_e32 v166, 0x200, v164
	v_lshl_add_u64 v[8:9], v[166:167], 4, v[230:231]
	v_add_u32_e32 v166, 0x280, v164
	;; [unrolled: 10-line block ×14, first 2 shown]
	s_waitcnt lgkmcnt(1)
	global_store_dwordx4 v[8:9], v[0:3], off
	s_nop 1
	v_lshl_add_u64 v[0:1], v[166:167], 4, v[230:231]
	s_waitcnt lgkmcnt(0)
	global_store_dwordx4 v[0:1], v[4:7], off
.LBB0_19:
	s_endpgm
	.section	.rodata,"a",@progbits
	.p2align	6, 0x0
	.amdhsa_kernel fft_rtc_back_len3840_factors_10_6_2_2_2_2_2_2_wgs_128_tpt_128_halfLds_dp_ip_CI_unitstride_sbrr_C2R_dirReg
		.amdhsa_group_segment_fixed_size 0
		.amdhsa_private_segment_fixed_size 0
		.amdhsa_kernarg_size 88
		.amdhsa_user_sgpr_count 2
		.amdhsa_user_sgpr_dispatch_ptr 0
		.amdhsa_user_sgpr_queue_ptr 0
		.amdhsa_user_sgpr_kernarg_segment_ptr 1
		.amdhsa_user_sgpr_dispatch_id 0
		.amdhsa_user_sgpr_kernarg_preload_length 0
		.amdhsa_user_sgpr_kernarg_preload_offset 0
		.amdhsa_user_sgpr_private_segment_size 0
		.amdhsa_uses_dynamic_stack 0
		.amdhsa_enable_private_segment 0
		.amdhsa_system_sgpr_workgroup_id_x 1
		.amdhsa_system_sgpr_workgroup_id_y 0
		.amdhsa_system_sgpr_workgroup_id_z 0
		.amdhsa_system_sgpr_workgroup_info 0
		.amdhsa_system_vgpr_workitem_id 0
		.amdhsa_next_free_vgpr 292
		.amdhsa_next_free_sgpr 22
		.amdhsa_accum_offset 256
		.amdhsa_reserve_vcc 1
		.amdhsa_float_round_mode_32 0
		.amdhsa_float_round_mode_16_64 0
		.amdhsa_float_denorm_mode_32 3
		.amdhsa_float_denorm_mode_16_64 3
		.amdhsa_dx10_clamp 1
		.amdhsa_ieee_mode 1
		.amdhsa_fp16_overflow 0
		.amdhsa_tg_split 0
		.amdhsa_exception_fp_ieee_invalid_op 0
		.amdhsa_exception_fp_denorm_src 0
		.amdhsa_exception_fp_ieee_div_zero 0
		.amdhsa_exception_fp_ieee_overflow 0
		.amdhsa_exception_fp_ieee_underflow 0
		.amdhsa_exception_fp_ieee_inexact 0
		.amdhsa_exception_int_div_zero 0
	.end_amdhsa_kernel
	.text
.Lfunc_end0:
	.size	fft_rtc_back_len3840_factors_10_6_2_2_2_2_2_2_wgs_128_tpt_128_halfLds_dp_ip_CI_unitstride_sbrr_C2R_dirReg, .Lfunc_end0-fft_rtc_back_len3840_factors_10_6_2_2_2_2_2_2_wgs_128_tpt_128_halfLds_dp_ip_CI_unitstride_sbrr_C2R_dirReg
                                        ; -- End function
	.section	.AMDGPU.csdata,"",@progbits
; Kernel info:
; codeLenInByte = 26176
; NumSgprs: 28
; NumVgprs: 256
; NumAgprs: 36
; TotalNumVgprs: 292
; ScratchSize: 0
; MemoryBound: 0
; FloatMode: 240
; IeeeMode: 1
; LDSByteSize: 0 bytes/workgroup (compile time only)
; SGPRBlocks: 3
; VGPRBlocks: 36
; NumSGPRsForWavesPerEU: 28
; NumVGPRsForWavesPerEU: 292
; AccumOffset: 256
; Occupancy: 1
; WaveLimiterHint : 1
; COMPUTE_PGM_RSRC2:SCRATCH_EN: 0
; COMPUTE_PGM_RSRC2:USER_SGPR: 2
; COMPUTE_PGM_RSRC2:TRAP_HANDLER: 0
; COMPUTE_PGM_RSRC2:TGID_X_EN: 1
; COMPUTE_PGM_RSRC2:TGID_Y_EN: 0
; COMPUTE_PGM_RSRC2:TGID_Z_EN: 0
; COMPUTE_PGM_RSRC2:TIDIG_COMP_CNT: 0
; COMPUTE_PGM_RSRC3_GFX90A:ACCUM_OFFSET: 63
; COMPUTE_PGM_RSRC3_GFX90A:TG_SPLIT: 0
	.text
	.p2alignl 6, 3212836864
	.fill 256, 4, 3212836864
	.type	__hip_cuid_9b8f462cfb982b44,@object ; @__hip_cuid_9b8f462cfb982b44
	.section	.bss,"aw",@nobits
	.globl	__hip_cuid_9b8f462cfb982b44
__hip_cuid_9b8f462cfb982b44:
	.byte	0                               ; 0x0
	.size	__hip_cuid_9b8f462cfb982b44, 1

	.ident	"AMD clang version 19.0.0git (https://github.com/RadeonOpenCompute/llvm-project roc-6.4.0 25133 c7fe45cf4b819c5991fe208aaa96edf142730f1d)"
	.section	".note.GNU-stack","",@progbits
	.addrsig
	.addrsig_sym __hip_cuid_9b8f462cfb982b44
	.amdgpu_metadata
---
amdhsa.kernels:
  - .agpr_count:     36
    .args:
      - .actual_access:  read_only
        .address_space:  global
        .offset:         0
        .size:           8
        .value_kind:     global_buffer
      - .offset:         8
        .size:           8
        .value_kind:     by_value
      - .actual_access:  read_only
        .address_space:  global
        .offset:         16
        .size:           8
        .value_kind:     global_buffer
      - .actual_access:  read_only
        .address_space:  global
        .offset:         24
        .size:           8
        .value_kind:     global_buffer
      - .offset:         32
        .size:           8
        .value_kind:     by_value
      - .actual_access:  read_only
        .address_space:  global
        .offset:         40
        .size:           8
        .value_kind:     global_buffer
      - .actual_access:  read_only
        .address_space:  global
        .offset:         48
        .size:           8
        .value_kind:     global_buffer
      - .offset:         56
        .size:           4
        .value_kind:     by_value
      - .actual_access:  read_only
        .address_space:  global
        .offset:         64
        .size:           8
        .value_kind:     global_buffer
      - .actual_access:  read_only
        .address_space:  global
        .offset:         72
        .size:           8
        .value_kind:     global_buffer
      - .address_space:  global
        .offset:         80
        .size:           8
        .value_kind:     global_buffer
    .group_segment_fixed_size: 0
    .kernarg_segment_align: 8
    .kernarg_segment_size: 88
    .language:       OpenCL C
    .language_version:
      - 2
      - 0
    .max_flat_workgroup_size: 128
    .name:           fft_rtc_back_len3840_factors_10_6_2_2_2_2_2_2_wgs_128_tpt_128_halfLds_dp_ip_CI_unitstride_sbrr_C2R_dirReg
    .private_segment_fixed_size: 0
    .sgpr_count:     28
    .sgpr_spill_count: 0
    .symbol:         fft_rtc_back_len3840_factors_10_6_2_2_2_2_2_2_wgs_128_tpt_128_halfLds_dp_ip_CI_unitstride_sbrr_C2R_dirReg.kd
    .uniform_work_group_size: 1
    .uses_dynamic_stack: false
    .vgpr_count:     292
    .vgpr_spill_count: 0
    .wavefront_size: 64
amdhsa.target:   amdgcn-amd-amdhsa--gfx950
amdhsa.version:
  - 1
  - 2
...

	.end_amdgpu_metadata
